;; amdgpu-corpus repo=ROCm/rocBLAS kind=compiled arch=gfx1100 opt=O3
	.text
	.amdgcn_target "amdgcn-amd-amdhsa--gfx1100"
	.amdhsa_code_object_version 6
	.section	.text._ZL19rocblas_copy_kernelIiLi256EPKfPfEviT1_lT_lT2_lS4_li,"axG",@progbits,_ZL19rocblas_copy_kernelIiLi256EPKfPfEviT1_lT_lT2_lS4_li,comdat
	.globl	_ZL19rocblas_copy_kernelIiLi256EPKfPfEviT1_lT_lT2_lS4_li ; -- Begin function _ZL19rocblas_copy_kernelIiLi256EPKfPfEviT1_lT_lT2_lS4_li
	.p2align	8
	.type	_ZL19rocblas_copy_kernelIiLi256EPKfPfEviT1_lT_lT2_lS4_li,@function
_ZL19rocblas_copy_kernelIiLi256EPKfPfEviT1_lT_lT2_lS4_li: ; @_ZL19rocblas_copy_kernelIiLi256EPKfPfEviT1_lT_lT2_lS4_li
; %bb.0:
	s_load_b32 s2, s[0:1], 0x0
	v_lshl_or_b32 v0, s14, 8, v0
	v_mov_b32_e32 v1, 0
	s_waitcnt lgkmcnt(0)
	s_ashr_i32 s3, s2, 31
	s_delay_alu instid0(VALU_DEP_1) | instid1(SALU_CYCLE_1)
	v_cmp_gt_i64_e32 vcc_lo, s[2:3], v[0:1]
	s_and_saveexec_b32 s2, vcc_lo
	s_cbranch_execz .LBB0_2
; %bb.1:
	s_clause 0x5
	s_load_b32 s12, s[0:1], 0x18
	s_load_b32 s13, s[0:1], 0x38
	s_load_b64 s[8:9], s[0:1], 0x40
	s_load_b128 s[4:7], s[0:1], 0x20
	s_load_b64 s[10:11], s[0:1], 0x30
	s_load_b128 s[0:3], s[0:1], 0x8
	s_waitcnt lgkmcnt(0)
	v_mad_u64_u32 v[1:2], null, s12, v0, 0
	s_ashr_i32 s12, s12, 31
	s_mul_i32 s9, s15, s9
	s_mul_hi_u32 s16, s15, s8
	s_mul_i32 s8, s15, s8
	s_add_i32 s9, s16, s9
	s_ashr_i32 s14, s13, 31
	s_delay_alu instid0(VALU_DEP_1)
	v_mad_u64_u32 v[3:4], null, s12, v0, v[2:3]
	s_lshl_b64 s[8:9], s[8:9], 2
	s_mul_i32 s5, s15, s5
	s_add_u32 s8, s6, s8
	s_addc_u32 s9, s7, s9
	s_lshl_b64 s[6:7], s[10:11], 2
	s_mul_hi_u32 s16, s15, s4
	s_delay_alu instid0(VALU_DEP_1)
	v_mov_b32_e32 v2, v3
	s_add_u32 s6, s8, s6
	s_mul_i32 s4, s15, s4
	s_addc_u32 s7, s9, s7
	s_add_i32 s5, s16, s5
	v_lshlrev_b64 v[1:2], 2, v[1:2]
	s_lshl_b64 s[4:5], s[4:5], 2
	s_delay_alu instid0(SALU_CYCLE_1) | instskip(SKIP_2) | instid1(SALU_CYCLE_1)
	s_add_u32 s4, s0, s4
	s_addc_u32 s5, s1, s5
	s_lshl_b64 s[0:1], s[2:3], 2
	s_add_u32 s0, s4, s0
	s_addc_u32 s1, s5, s1
	v_add_co_u32 v1, vcc_lo, s0, v1
	v_add_co_ci_u32_e32 v2, vcc_lo, s1, v2, vcc_lo
	global_load_b32 v5, v[1:2], off
	v_mad_u64_u32 v[1:2], null, s13, v0, 0
	s_delay_alu instid0(VALU_DEP_1) | instskip(NEXT) | instid1(VALU_DEP_1)
	v_mad_u64_u32 v[3:4], null, s14, v0, v[2:3]
	v_mov_b32_e32 v2, v3
	s_delay_alu instid0(VALU_DEP_1) | instskip(NEXT) | instid1(VALU_DEP_1)
	v_lshlrev_b64 v[0:1], 2, v[1:2]
	v_add_co_u32 v0, vcc_lo, s6, v0
	s_delay_alu instid0(VALU_DEP_2)
	v_add_co_ci_u32_e32 v1, vcc_lo, s7, v1, vcc_lo
	s_waitcnt vmcnt(0)
	global_store_b32 v[0:1], v5, off
.LBB0_2:
	s_nop 0
	s_sendmsg sendmsg(MSG_DEALLOC_VGPRS)
	s_endpgm
	.section	.rodata,"a",@progbits
	.p2align	6, 0x0
	.amdhsa_kernel _ZL19rocblas_copy_kernelIiLi256EPKfPfEviT1_lT_lT2_lS4_li
		.amdhsa_group_segment_fixed_size 0
		.amdhsa_private_segment_fixed_size 0
		.amdhsa_kernarg_size 76
		.amdhsa_user_sgpr_count 14
		.amdhsa_user_sgpr_dispatch_ptr 0
		.amdhsa_user_sgpr_queue_ptr 0
		.amdhsa_user_sgpr_kernarg_segment_ptr 1
		.amdhsa_user_sgpr_dispatch_id 0
		.amdhsa_user_sgpr_private_segment_size 0
		.amdhsa_wavefront_size32 1
		.amdhsa_uses_dynamic_stack 0
		.amdhsa_enable_private_segment 0
		.amdhsa_system_sgpr_workgroup_id_x 1
		.amdhsa_system_sgpr_workgroup_id_y 0
		.amdhsa_system_sgpr_workgroup_id_z 1
		.amdhsa_system_sgpr_workgroup_info 0
		.amdhsa_system_vgpr_workitem_id 0
		.amdhsa_next_free_vgpr 6
		.amdhsa_next_free_sgpr 17
		.amdhsa_reserve_vcc 1
		.amdhsa_float_round_mode_32 0
		.amdhsa_float_round_mode_16_64 0
		.amdhsa_float_denorm_mode_32 3
		.amdhsa_float_denorm_mode_16_64 3
		.amdhsa_dx10_clamp 1
		.amdhsa_ieee_mode 1
		.amdhsa_fp16_overflow 0
		.amdhsa_workgroup_processor_mode 1
		.amdhsa_memory_ordered 1
		.amdhsa_forward_progress 0
		.amdhsa_shared_vgpr_count 0
		.amdhsa_exception_fp_ieee_invalid_op 0
		.amdhsa_exception_fp_denorm_src 0
		.amdhsa_exception_fp_ieee_div_zero 0
		.amdhsa_exception_fp_ieee_overflow 0
		.amdhsa_exception_fp_ieee_underflow 0
		.amdhsa_exception_fp_ieee_inexact 0
		.amdhsa_exception_int_div_zero 0
	.end_amdhsa_kernel
	.section	.text._ZL19rocblas_copy_kernelIiLi256EPKfPfEviT1_lT_lT2_lS4_li,"axG",@progbits,_ZL19rocblas_copy_kernelIiLi256EPKfPfEviT1_lT_lT2_lS4_li,comdat
.Lfunc_end0:
	.size	_ZL19rocblas_copy_kernelIiLi256EPKfPfEviT1_lT_lT2_lS4_li, .Lfunc_end0-_ZL19rocblas_copy_kernelIiLi256EPKfPfEviT1_lT_lT2_lS4_li
                                        ; -- End function
	.section	.AMDGPU.csdata,"",@progbits
; Kernel info:
; codeLenInByte = 324
; NumSgprs: 19
; NumVgprs: 6
; ScratchSize: 0
; MemoryBound: 0
; FloatMode: 240
; IeeeMode: 1
; LDSByteSize: 0 bytes/workgroup (compile time only)
; SGPRBlocks: 2
; VGPRBlocks: 0
; NumSGPRsForWavesPerEU: 19
; NumVGPRsForWavesPerEU: 6
; Occupancy: 16
; WaveLimiterHint : 0
; COMPUTE_PGM_RSRC2:SCRATCH_EN: 0
; COMPUTE_PGM_RSRC2:USER_SGPR: 14
; COMPUTE_PGM_RSRC2:TRAP_HANDLER: 0
; COMPUTE_PGM_RSRC2:TGID_X_EN: 1
; COMPUTE_PGM_RSRC2:TGID_Y_EN: 0
; COMPUTE_PGM_RSRC2:TGID_Z_EN: 1
; COMPUTE_PGM_RSRC2:TIDIG_COMP_CNT: 0
	.section	.text._ZL22rocblas_scopy_2_kernelILi256EPKfPfEviT0_llT1_lli,"axG",@progbits,_ZL22rocblas_scopy_2_kernelILi256EPKfPfEviT0_llT1_lli,comdat
	.globl	_ZL22rocblas_scopy_2_kernelILi256EPKfPfEviT0_llT1_lli ; -- Begin function _ZL22rocblas_scopy_2_kernelILi256EPKfPfEviT0_llT1_lli
	.p2align	8
	.type	_ZL22rocblas_scopy_2_kernelILi256EPKfPfEviT0_llT1_lli,@function
_ZL22rocblas_scopy_2_kernelILi256EPKfPfEviT0_llT1_lli: ; @_ZL22rocblas_scopy_2_kernelILi256EPKfPfEviT0_llT1_lli
; %bb.0:
	s_clause 0x4
	s_load_b128 s[4:7], s[0:1], 0x10
	s_load_b128 s[8:11], s[0:1], 0x28
	s_load_b64 s[12:13], s[0:1], 0x8
	s_load_b64 s[16:17], s[0:1], 0x20
	s_load_b32 s2, s[0:1], 0x0
	v_dual_mov_b32 v3, 0 :: v_dual_lshlrev_b32 v0, 1, v0
	s_delay_alu instid0(VALU_DEP_1) | instskip(NEXT) | instid1(VALU_DEP_1)
	v_lshl_or_b32 v2, s14, 9, v0
	v_lshlrev_b64 v[0:1], 2, v[2:3]
	s_waitcnt lgkmcnt(0)
	s_mul_i32 s1, s15, s7
	s_mul_hi_u32 s3, s15, s6
	s_mul_i32 s0, s15, s6
	s_add_i32 s1, s3, s1
	s_mul_i32 s7, s15, s11
	s_lshl_b64 s[0:1], s[0:1], 2
	s_mul_hi_u32 s11, s15, s10
	s_add_u32 s3, s12, s0
	s_addc_u32 s12, s13, s1
	s_lshl_b64 s[0:1], s[4:5], 2
	s_mul_i32 s6, s15, s10
	s_add_u32 s3, s3, s0
	s_addc_u32 s4, s12, s1
	s_add_i32 s7, s11, s7
	s_delay_alu instid0(SALU_CYCLE_1) | instskip(SKIP_4) | instid1(SALU_CYCLE_1)
	s_lshl_b64 s[0:1], s[6:7], 2
	s_mov_b32 s7, exec_lo
	s_add_u32 s5, s16, s0
	s_addc_u32 s6, s17, s1
	s_lshl_b64 s[0:1], s[8:9], 2
	s_add_u32 s5, s5, s0
	s_addc_u32 s6, s6, s1
	s_add_i32 s0, s2, -1
	s_delay_alu instid0(SALU_CYCLE_1) | instskip(NEXT) | instid1(SALU_CYCLE_1)
	s_ashr_i32 s1, s0, 31
	v_cmpx_gt_i64_e64 s[0:1], v[2:3]
	s_cbranch_execz .LBB1_2
; %bb.1:
	v_add_co_u32 v4, vcc_lo, s3, v0
	v_add_co_ci_u32_e32 v5, vcc_lo, s4, v1, vcc_lo
	v_add_co_u32 v6, vcc_lo, s5, v0
	v_add_co_ci_u32_e32 v7, vcc_lo, s6, v1, vcc_lo
	global_load_b64 v[4:5], v[4:5], off
	s_waitcnt vmcnt(0)
	global_store_b64 v[6:7], v[4:5], off
.LBB1_2:
	s_or_b32 exec_lo, exec_lo, s7
	v_cmp_eq_u64_e32 vcc_lo, s[0:1], v[2:3]
	s_bitcmp1_b32 s2, 0
	s_cselect_b32 s0, -1, 0
	s_delay_alu instid0(SALU_CYCLE_1) | instskip(NEXT) | instid1(SALU_CYCLE_1)
	s_and_b32 s0, s0, vcc_lo
	s_and_saveexec_b32 s1, s0
	s_cbranch_execz .LBB1_4
; %bb.3:
	v_add_co_u32 v2, vcc_lo, s3, v0
	v_add_co_ci_u32_e32 v3, vcc_lo, s4, v1, vcc_lo
	v_add_co_u32 v0, vcc_lo, s5, v0
	v_add_co_ci_u32_e32 v1, vcc_lo, s6, v1, vcc_lo
	global_load_b32 v2, v[2:3], off
	s_waitcnt vmcnt(0)
	global_store_b32 v[0:1], v2, off
.LBB1_4:
	s_nop 0
	s_sendmsg sendmsg(MSG_DEALLOC_VGPRS)
	s_endpgm
	.section	.rodata,"a",@progbits
	.p2align	6, 0x0
	.amdhsa_kernel _ZL22rocblas_scopy_2_kernelILi256EPKfPfEviT0_llT1_lli
		.amdhsa_group_segment_fixed_size 0
		.amdhsa_private_segment_fixed_size 0
		.amdhsa_kernarg_size 60
		.amdhsa_user_sgpr_count 14
		.amdhsa_user_sgpr_dispatch_ptr 0
		.amdhsa_user_sgpr_queue_ptr 0
		.amdhsa_user_sgpr_kernarg_segment_ptr 1
		.amdhsa_user_sgpr_dispatch_id 0
		.amdhsa_user_sgpr_private_segment_size 0
		.amdhsa_wavefront_size32 1
		.amdhsa_uses_dynamic_stack 0
		.amdhsa_enable_private_segment 0
		.amdhsa_system_sgpr_workgroup_id_x 1
		.amdhsa_system_sgpr_workgroup_id_y 0
		.amdhsa_system_sgpr_workgroup_id_z 1
		.amdhsa_system_sgpr_workgroup_info 0
		.amdhsa_system_vgpr_workitem_id 0
		.amdhsa_next_free_vgpr 8
		.amdhsa_next_free_sgpr 18
		.amdhsa_reserve_vcc 1
		.amdhsa_float_round_mode_32 0
		.amdhsa_float_round_mode_16_64 0
		.amdhsa_float_denorm_mode_32 3
		.amdhsa_float_denorm_mode_16_64 3
		.amdhsa_dx10_clamp 1
		.amdhsa_ieee_mode 1
		.amdhsa_fp16_overflow 0
		.amdhsa_workgroup_processor_mode 1
		.amdhsa_memory_ordered 1
		.amdhsa_forward_progress 0
		.amdhsa_shared_vgpr_count 0
		.amdhsa_exception_fp_ieee_invalid_op 0
		.amdhsa_exception_fp_denorm_src 0
		.amdhsa_exception_fp_ieee_div_zero 0
		.amdhsa_exception_fp_ieee_overflow 0
		.amdhsa_exception_fp_ieee_underflow 0
		.amdhsa_exception_fp_ieee_inexact 0
		.amdhsa_exception_int_div_zero 0
	.end_amdhsa_kernel
	.section	.text._ZL22rocblas_scopy_2_kernelILi256EPKfPfEviT0_llT1_lli,"axG",@progbits,_ZL22rocblas_scopy_2_kernelILi256EPKfPfEviT0_llT1_lli,comdat
.Lfunc_end1:
	.size	_ZL22rocblas_scopy_2_kernelILi256EPKfPfEviT0_llT1_lli, .Lfunc_end1-_ZL22rocblas_scopy_2_kernelILi256EPKfPfEviT0_llT1_lli
                                        ; -- End function
	.section	.AMDGPU.csdata,"",@progbits
; Kernel info:
; codeLenInByte = 320
; NumSgprs: 20
; NumVgprs: 8
; ScratchSize: 0
; MemoryBound: 0
; FloatMode: 240
; IeeeMode: 1
; LDSByteSize: 0 bytes/workgroup (compile time only)
; SGPRBlocks: 2
; VGPRBlocks: 0
; NumSGPRsForWavesPerEU: 20
; NumVGPRsForWavesPerEU: 8
; Occupancy: 16
; WaveLimiterHint : 0
; COMPUTE_PGM_RSRC2:SCRATCH_EN: 0
; COMPUTE_PGM_RSRC2:USER_SGPR: 14
; COMPUTE_PGM_RSRC2:TRAP_HANDLER: 0
; COMPUTE_PGM_RSRC2:TGID_X_EN: 1
; COMPUTE_PGM_RSRC2:TGID_Y_EN: 0
; COMPUTE_PGM_RSRC2:TGID_Z_EN: 1
; COMPUTE_PGM_RSRC2:TIDIG_COMP_CNT: 0
	.section	.text._ZL19rocblas_copy_kernelIlLi256EPKfPfEviT1_lT_lT2_lS4_li,"axG",@progbits,_ZL19rocblas_copy_kernelIlLi256EPKfPfEviT1_lT_lT2_lS4_li,comdat
	.globl	_ZL19rocblas_copy_kernelIlLi256EPKfPfEviT1_lT_lT2_lS4_li ; -- Begin function _ZL19rocblas_copy_kernelIlLi256EPKfPfEviT1_lT_lT2_lS4_li
	.p2align	8
	.type	_ZL19rocblas_copy_kernelIlLi256EPKfPfEviT1_lT_lT2_lS4_li,@function
_ZL19rocblas_copy_kernelIlLi256EPKfPfEviT1_lT_lT2_lS4_li: ; @_ZL19rocblas_copy_kernelIlLi256EPKfPfEviT1_lT_lT2_lS4_li
; %bb.0:
	s_load_b32 s2, s[0:1], 0x0
	v_lshl_or_b32 v0, s14, 8, v0
	v_mov_b32_e32 v1, 0
	s_waitcnt lgkmcnt(0)
	s_ashr_i32 s3, s2, 31
	s_delay_alu instid0(VALU_DEP_1) | instid1(SALU_CYCLE_1)
	v_cmp_gt_i64_e32 vcc_lo, s[2:3], v[0:1]
	s_and_saveexec_b32 s2, vcc_lo
	s_cbranch_execz .LBB2_2
; %bb.1:
	s_load_b512 s[16:31], s[0:1], 0x8
	s_waitcnt lgkmcnt(0)
	v_mad_u64_u32 v[1:2], null, v0, s20, 0
	s_mul_i32 s1, s15, s31
	s_mul_hi_u32 s2, s15, s30
	s_mul_i32 s0, s15, s30
	s_add_i32 s1, s2, s1
	s_mul_i32 s3, s15, s23
	s_lshl_b64 s[0:1], s[0:1], 2
	s_delay_alu instid0(VALU_DEP_1)
	v_mad_u64_u32 v[3:4], null, v0, s21, v[2:3]
	s_add_u32 s5, s24, s0
	s_addc_u32 s6, s25, s1
	s_lshl_b64 s[0:1], s[26:27], 2
	s_mul_hi_u32 s4, s15, s22
	s_add_u32 s5, s5, s0
	s_mul_i32 s2, s15, s22
	s_delay_alu instid0(VALU_DEP_1) | instskip(SKIP_2) | instid1(SALU_CYCLE_1)
	v_mov_b32_e32 v2, v3
	s_addc_u32 s6, s6, s1
	s_add_i32 s3, s4, s3
	s_lshl_b64 s[0:1], s[2:3], 2
	s_delay_alu instid0(VALU_DEP_1) | instskip(SKIP_3) | instid1(SALU_CYCLE_1)
	v_lshlrev_b64 v[1:2], 2, v[1:2]
	s_add_u32 s2, s16, s0
	s_addc_u32 s3, s17, s1
	s_lshl_b64 s[0:1], s[18:19], 2
	s_add_u32 s0, s2, s0
	s_addc_u32 s1, s3, s1
	v_add_co_u32 v1, vcc_lo, s0, v1
	v_add_co_ci_u32_e32 v2, vcc_lo, s1, v2, vcc_lo
	global_load_b32 v5, v[1:2], off
	v_mad_u64_u32 v[1:2], null, v0, s28, 0
	s_delay_alu instid0(VALU_DEP_1) | instskip(NEXT) | instid1(VALU_DEP_1)
	v_mad_u64_u32 v[3:4], null, v0, s29, v[2:3]
	v_mov_b32_e32 v2, v3
	s_delay_alu instid0(VALU_DEP_1) | instskip(NEXT) | instid1(VALU_DEP_1)
	v_lshlrev_b64 v[0:1], 2, v[1:2]
	v_add_co_u32 v0, vcc_lo, s5, v0
	s_delay_alu instid0(VALU_DEP_2)
	v_add_co_ci_u32_e32 v1, vcc_lo, s6, v1, vcc_lo
	s_waitcnt vmcnt(0)
	global_store_b32 v[0:1], v5, off
.LBB2_2:
	s_nop 0
	s_sendmsg sendmsg(MSG_DEALLOC_VGPRS)
	s_endpgm
	.section	.rodata,"a",@progbits
	.p2align	6, 0x0
	.amdhsa_kernel _ZL19rocblas_copy_kernelIlLi256EPKfPfEviT1_lT_lT2_lS4_li
		.amdhsa_group_segment_fixed_size 0
		.amdhsa_private_segment_fixed_size 0
		.amdhsa_kernarg_size 76
		.amdhsa_user_sgpr_count 14
		.amdhsa_user_sgpr_dispatch_ptr 0
		.amdhsa_user_sgpr_queue_ptr 0
		.amdhsa_user_sgpr_kernarg_segment_ptr 1
		.amdhsa_user_sgpr_dispatch_id 0
		.amdhsa_user_sgpr_private_segment_size 0
		.amdhsa_wavefront_size32 1
		.amdhsa_uses_dynamic_stack 0
		.amdhsa_enable_private_segment 0
		.amdhsa_system_sgpr_workgroup_id_x 1
		.amdhsa_system_sgpr_workgroup_id_y 0
		.amdhsa_system_sgpr_workgroup_id_z 1
		.amdhsa_system_sgpr_workgroup_info 0
		.amdhsa_system_vgpr_workitem_id 0
		.amdhsa_next_free_vgpr 6
		.amdhsa_next_free_sgpr 32
		.amdhsa_reserve_vcc 1
		.amdhsa_float_round_mode_32 0
		.amdhsa_float_round_mode_16_64 0
		.amdhsa_float_denorm_mode_32 3
		.amdhsa_float_denorm_mode_16_64 3
		.amdhsa_dx10_clamp 1
		.amdhsa_ieee_mode 1
		.amdhsa_fp16_overflow 0
		.amdhsa_workgroup_processor_mode 1
		.amdhsa_memory_ordered 1
		.amdhsa_forward_progress 0
		.amdhsa_shared_vgpr_count 0
		.amdhsa_exception_fp_ieee_invalid_op 0
		.amdhsa_exception_fp_denorm_src 0
		.amdhsa_exception_fp_ieee_div_zero 0
		.amdhsa_exception_fp_ieee_overflow 0
		.amdhsa_exception_fp_ieee_underflow 0
		.amdhsa_exception_fp_ieee_inexact 0
		.amdhsa_exception_int_div_zero 0
	.end_amdhsa_kernel
	.section	.text._ZL19rocblas_copy_kernelIlLi256EPKfPfEviT1_lT_lT2_lS4_li,"axG",@progbits,_ZL19rocblas_copy_kernelIlLi256EPKfPfEviT1_lT_lT2_lS4_li,comdat
.Lfunc_end2:
	.size	_ZL19rocblas_copy_kernelIlLi256EPKfPfEviT1_lT_lT2_lS4_li, .Lfunc_end2-_ZL19rocblas_copy_kernelIlLi256EPKfPfEviT1_lT_lT2_lS4_li
                                        ; -- End function
	.section	.AMDGPU.csdata,"",@progbits
; Kernel info:
; codeLenInByte = 272
; NumSgprs: 34
; NumVgprs: 6
; ScratchSize: 0
; MemoryBound: 0
; FloatMode: 240
; IeeeMode: 1
; LDSByteSize: 0 bytes/workgroup (compile time only)
; SGPRBlocks: 4
; VGPRBlocks: 0
; NumSGPRsForWavesPerEU: 34
; NumVGPRsForWavesPerEU: 6
; Occupancy: 16
; WaveLimiterHint : 0
; COMPUTE_PGM_RSRC2:SCRATCH_EN: 0
; COMPUTE_PGM_RSRC2:USER_SGPR: 14
; COMPUTE_PGM_RSRC2:TRAP_HANDLER: 0
; COMPUTE_PGM_RSRC2:TGID_X_EN: 1
; COMPUTE_PGM_RSRC2:TGID_Y_EN: 0
; COMPUTE_PGM_RSRC2:TGID_Z_EN: 1
; COMPUTE_PGM_RSRC2:TIDIG_COMP_CNT: 0
	.section	.text._ZL19rocblas_copy_kernelIiLi256EPKdPdEviT1_lT_lT2_lS4_li,"axG",@progbits,_ZL19rocblas_copy_kernelIiLi256EPKdPdEviT1_lT_lT2_lS4_li,comdat
	.globl	_ZL19rocblas_copy_kernelIiLi256EPKdPdEviT1_lT_lT2_lS4_li ; -- Begin function _ZL19rocblas_copy_kernelIiLi256EPKdPdEviT1_lT_lT2_lS4_li
	.p2align	8
	.type	_ZL19rocblas_copy_kernelIiLi256EPKdPdEviT1_lT_lT2_lS4_li,@function
_ZL19rocblas_copy_kernelIiLi256EPKdPdEviT1_lT_lT2_lS4_li: ; @_ZL19rocblas_copy_kernelIiLi256EPKdPdEviT1_lT_lT2_lS4_li
; %bb.0:
	s_load_b32 s2, s[0:1], 0x0
	v_lshl_or_b32 v0, s14, 8, v0
	v_mov_b32_e32 v1, 0
	s_waitcnt lgkmcnt(0)
	s_ashr_i32 s3, s2, 31
	s_delay_alu instid0(VALU_DEP_1) | instid1(SALU_CYCLE_1)
	v_cmp_gt_i64_e32 vcc_lo, s[2:3], v[0:1]
	s_and_saveexec_b32 s2, vcc_lo
	s_cbranch_execz .LBB3_2
; %bb.1:
	s_clause 0x5
	s_load_b32 s12, s[0:1], 0x18
	s_load_b32 s13, s[0:1], 0x38
	s_load_b64 s[8:9], s[0:1], 0x40
	s_load_b128 s[4:7], s[0:1], 0x20
	s_load_b64 s[10:11], s[0:1], 0x30
	s_load_b128 s[0:3], s[0:1], 0x8
	s_waitcnt lgkmcnt(0)
	v_mad_u64_u32 v[1:2], null, s12, v0, 0
	s_ashr_i32 s12, s12, 31
	s_mul_i32 s9, s15, s9
	s_mul_hi_u32 s16, s15, s8
	s_mul_i32 s8, s15, s8
	s_add_i32 s9, s16, s9
	s_ashr_i32 s14, s13, 31
	s_delay_alu instid0(VALU_DEP_1)
	v_mad_u64_u32 v[3:4], null, s12, v0, v[2:3]
	s_lshl_b64 s[8:9], s[8:9], 3
	s_mul_i32 s5, s15, s5
	s_add_u32 s8, s6, s8
	s_addc_u32 s9, s7, s9
	s_lshl_b64 s[6:7], s[10:11], 3
	s_mul_hi_u32 s16, s15, s4
	s_delay_alu instid0(VALU_DEP_1)
	v_mov_b32_e32 v2, v3
	s_add_u32 s6, s8, s6
	s_mul_i32 s4, s15, s4
	s_addc_u32 s7, s9, s7
	s_add_i32 s5, s16, s5
	v_lshlrev_b64 v[1:2], 3, v[1:2]
	s_lshl_b64 s[4:5], s[4:5], 3
	v_mad_u64_u32 v[3:4], null, s13, v0, 0
	s_add_u32 s4, s0, s4
	s_addc_u32 s5, s1, s5
	s_lshl_b64 s[0:1], s[2:3], 3
	s_delay_alu instid0(SALU_CYCLE_1)
	s_add_u32 s0, s4, s0
	s_addc_u32 s1, s5, s1
	v_add_co_u32 v1, vcc_lo, s0, v1
	v_add_co_ci_u32_e32 v2, vcc_lo, s1, v2, vcc_lo
	v_mad_u64_u32 v[5:6], null, s14, v0, v[4:5]
	global_load_b64 v[1:2], v[1:2], off
	v_mov_b32_e32 v4, v5
	s_delay_alu instid0(VALU_DEP_1) | instskip(NEXT) | instid1(VALU_DEP_1)
	v_lshlrev_b64 v[3:4], 3, v[3:4]
	v_add_co_u32 v3, vcc_lo, s6, v3
	s_delay_alu instid0(VALU_DEP_2)
	v_add_co_ci_u32_e32 v4, vcc_lo, s7, v4, vcc_lo
	s_waitcnt vmcnt(0)
	global_store_b64 v[3:4], v[1:2], off
.LBB3_2:
	s_nop 0
	s_sendmsg sendmsg(MSG_DEALLOC_VGPRS)
	s_endpgm
	.section	.rodata,"a",@progbits
	.p2align	6, 0x0
	.amdhsa_kernel _ZL19rocblas_copy_kernelIiLi256EPKdPdEviT1_lT_lT2_lS4_li
		.amdhsa_group_segment_fixed_size 0
		.amdhsa_private_segment_fixed_size 0
		.amdhsa_kernarg_size 76
		.amdhsa_user_sgpr_count 14
		.amdhsa_user_sgpr_dispatch_ptr 0
		.amdhsa_user_sgpr_queue_ptr 0
		.amdhsa_user_sgpr_kernarg_segment_ptr 1
		.amdhsa_user_sgpr_dispatch_id 0
		.amdhsa_user_sgpr_private_segment_size 0
		.amdhsa_wavefront_size32 1
		.amdhsa_uses_dynamic_stack 0
		.amdhsa_enable_private_segment 0
		.amdhsa_system_sgpr_workgroup_id_x 1
		.amdhsa_system_sgpr_workgroup_id_y 0
		.amdhsa_system_sgpr_workgroup_id_z 1
		.amdhsa_system_sgpr_workgroup_info 0
		.amdhsa_system_vgpr_workitem_id 0
		.amdhsa_next_free_vgpr 7
		.amdhsa_next_free_sgpr 17
		.amdhsa_reserve_vcc 1
		.amdhsa_float_round_mode_32 0
		.amdhsa_float_round_mode_16_64 0
		.amdhsa_float_denorm_mode_32 3
		.amdhsa_float_denorm_mode_16_64 3
		.amdhsa_dx10_clamp 1
		.amdhsa_ieee_mode 1
		.amdhsa_fp16_overflow 0
		.amdhsa_workgroup_processor_mode 1
		.amdhsa_memory_ordered 1
		.amdhsa_forward_progress 0
		.amdhsa_shared_vgpr_count 0
		.amdhsa_exception_fp_ieee_invalid_op 0
		.amdhsa_exception_fp_denorm_src 0
		.amdhsa_exception_fp_ieee_div_zero 0
		.amdhsa_exception_fp_ieee_overflow 0
		.amdhsa_exception_fp_ieee_underflow 0
		.amdhsa_exception_fp_ieee_inexact 0
		.amdhsa_exception_int_div_zero 0
	.end_amdhsa_kernel
	.section	.text._ZL19rocblas_copy_kernelIiLi256EPKdPdEviT1_lT_lT2_lS4_li,"axG",@progbits,_ZL19rocblas_copy_kernelIiLi256EPKdPdEviT1_lT_lT2_lS4_li,comdat
.Lfunc_end3:
	.size	_ZL19rocblas_copy_kernelIiLi256EPKdPdEviT1_lT_lT2_lS4_li, .Lfunc_end3-_ZL19rocblas_copy_kernelIiLi256EPKdPdEviT1_lT_lT2_lS4_li
                                        ; -- End function
	.section	.AMDGPU.csdata,"",@progbits
; Kernel info:
; codeLenInByte = 320
; NumSgprs: 19
; NumVgprs: 7
; ScratchSize: 0
; MemoryBound: 0
; FloatMode: 240
; IeeeMode: 1
; LDSByteSize: 0 bytes/workgroup (compile time only)
; SGPRBlocks: 2
; VGPRBlocks: 0
; NumSGPRsForWavesPerEU: 19
; NumVGPRsForWavesPerEU: 7
; Occupancy: 16
; WaveLimiterHint : 0
; COMPUTE_PGM_RSRC2:SCRATCH_EN: 0
; COMPUTE_PGM_RSRC2:USER_SGPR: 14
; COMPUTE_PGM_RSRC2:TRAP_HANDLER: 0
; COMPUTE_PGM_RSRC2:TGID_X_EN: 1
; COMPUTE_PGM_RSRC2:TGID_Y_EN: 0
; COMPUTE_PGM_RSRC2:TGID_Z_EN: 1
; COMPUTE_PGM_RSRC2:TIDIG_COMP_CNT: 0
	.section	.text._ZL19rocblas_copy_kernelIlLi256EPKdPdEviT1_lT_lT2_lS4_li,"axG",@progbits,_ZL19rocblas_copy_kernelIlLi256EPKdPdEviT1_lT_lT2_lS4_li,comdat
	.globl	_ZL19rocblas_copy_kernelIlLi256EPKdPdEviT1_lT_lT2_lS4_li ; -- Begin function _ZL19rocblas_copy_kernelIlLi256EPKdPdEviT1_lT_lT2_lS4_li
	.p2align	8
	.type	_ZL19rocblas_copy_kernelIlLi256EPKdPdEviT1_lT_lT2_lS4_li,@function
_ZL19rocblas_copy_kernelIlLi256EPKdPdEviT1_lT_lT2_lS4_li: ; @_ZL19rocblas_copy_kernelIlLi256EPKdPdEviT1_lT_lT2_lS4_li
; %bb.0:
	s_load_b32 s2, s[0:1], 0x0
	v_lshl_or_b32 v0, s14, 8, v0
	v_mov_b32_e32 v1, 0
	s_waitcnt lgkmcnt(0)
	s_ashr_i32 s3, s2, 31
	s_delay_alu instid0(VALU_DEP_1) | instid1(SALU_CYCLE_1)
	v_cmp_gt_i64_e32 vcc_lo, s[2:3], v[0:1]
	s_and_saveexec_b32 s2, vcc_lo
	s_cbranch_execz .LBB4_2
; %bb.1:
	s_load_b512 s[16:31], s[0:1], 0x8
	s_waitcnt lgkmcnt(0)
	v_mad_u64_u32 v[1:2], null, v0, s20, 0
	s_mul_i32 s1, s15, s31
	s_mul_hi_u32 s2, s15, s30
	s_mul_i32 s0, s15, s30
	s_add_i32 s1, s2, s1
	s_mul_i32 s3, s15, s23
	s_lshl_b64 s[0:1], s[0:1], 3
	s_delay_alu instid0(VALU_DEP_1)
	v_mad_u64_u32 v[3:4], null, v0, s21, v[2:3]
	s_add_u32 s5, s24, s0
	s_addc_u32 s6, s25, s1
	s_lshl_b64 s[0:1], s[26:27], 3
	s_mul_hi_u32 s4, s15, s22
	s_add_u32 s5, s5, s0
	s_mul_i32 s2, s15, s22
	s_delay_alu instid0(VALU_DEP_1)
	v_mov_b32_e32 v2, v3
	s_addc_u32 s6, s6, s1
	s_add_i32 s3, s4, s3
	v_mad_u64_u32 v[3:4], null, v0, s28, 0
	s_lshl_b64 s[0:1], s[2:3], 3
	v_lshlrev_b64 v[1:2], 3, v[1:2]
	s_add_u32 s2, s16, s0
	s_addc_u32 s3, s17, s1
	s_lshl_b64 s[0:1], s[18:19], 3
	s_delay_alu instid0(SALU_CYCLE_1)
	s_add_u32 s0, s2, s0
	s_addc_u32 s1, s3, s1
	v_add_co_u32 v1, vcc_lo, s0, v1
	v_add_co_ci_u32_e32 v2, vcc_lo, s1, v2, vcc_lo
	v_mad_u64_u32 v[5:6], null, v0, s29, v[4:5]
	global_load_b64 v[1:2], v[1:2], off
	v_mov_b32_e32 v4, v5
	s_delay_alu instid0(VALU_DEP_1) | instskip(NEXT) | instid1(VALU_DEP_1)
	v_lshlrev_b64 v[3:4], 3, v[3:4]
	v_add_co_u32 v3, vcc_lo, s5, v3
	s_delay_alu instid0(VALU_DEP_2)
	v_add_co_ci_u32_e32 v4, vcc_lo, s6, v4, vcc_lo
	s_waitcnt vmcnt(0)
	global_store_b64 v[3:4], v[1:2], off
.LBB4_2:
	s_nop 0
	s_sendmsg sendmsg(MSG_DEALLOC_VGPRS)
	s_endpgm
	.section	.rodata,"a",@progbits
	.p2align	6, 0x0
	.amdhsa_kernel _ZL19rocblas_copy_kernelIlLi256EPKdPdEviT1_lT_lT2_lS4_li
		.amdhsa_group_segment_fixed_size 0
		.amdhsa_private_segment_fixed_size 0
		.amdhsa_kernarg_size 76
		.amdhsa_user_sgpr_count 14
		.amdhsa_user_sgpr_dispatch_ptr 0
		.amdhsa_user_sgpr_queue_ptr 0
		.amdhsa_user_sgpr_kernarg_segment_ptr 1
		.amdhsa_user_sgpr_dispatch_id 0
		.amdhsa_user_sgpr_private_segment_size 0
		.amdhsa_wavefront_size32 1
		.amdhsa_uses_dynamic_stack 0
		.amdhsa_enable_private_segment 0
		.amdhsa_system_sgpr_workgroup_id_x 1
		.amdhsa_system_sgpr_workgroup_id_y 0
		.amdhsa_system_sgpr_workgroup_id_z 1
		.amdhsa_system_sgpr_workgroup_info 0
		.amdhsa_system_vgpr_workitem_id 0
		.amdhsa_next_free_vgpr 7
		.amdhsa_next_free_sgpr 32
		.amdhsa_reserve_vcc 1
		.amdhsa_float_round_mode_32 0
		.amdhsa_float_round_mode_16_64 0
		.amdhsa_float_denorm_mode_32 3
		.amdhsa_float_denorm_mode_16_64 3
		.amdhsa_dx10_clamp 1
		.amdhsa_ieee_mode 1
		.amdhsa_fp16_overflow 0
		.amdhsa_workgroup_processor_mode 1
		.amdhsa_memory_ordered 1
		.amdhsa_forward_progress 0
		.amdhsa_shared_vgpr_count 0
		.amdhsa_exception_fp_ieee_invalid_op 0
		.amdhsa_exception_fp_denorm_src 0
		.amdhsa_exception_fp_ieee_div_zero 0
		.amdhsa_exception_fp_ieee_overflow 0
		.amdhsa_exception_fp_ieee_underflow 0
		.amdhsa_exception_fp_ieee_inexact 0
		.amdhsa_exception_int_div_zero 0
	.end_amdhsa_kernel
	.section	.text._ZL19rocblas_copy_kernelIlLi256EPKdPdEviT1_lT_lT2_lS4_li,"axG",@progbits,_ZL19rocblas_copy_kernelIlLi256EPKdPdEviT1_lT_lT2_lS4_li,comdat
.Lfunc_end4:
	.size	_ZL19rocblas_copy_kernelIlLi256EPKdPdEviT1_lT_lT2_lS4_li, .Lfunc_end4-_ZL19rocblas_copy_kernelIlLi256EPKdPdEviT1_lT_lT2_lS4_li
                                        ; -- End function
	.section	.AMDGPU.csdata,"",@progbits
; Kernel info:
; codeLenInByte = 268
; NumSgprs: 34
; NumVgprs: 7
; ScratchSize: 0
; MemoryBound: 0
; FloatMode: 240
; IeeeMode: 1
; LDSByteSize: 0 bytes/workgroup (compile time only)
; SGPRBlocks: 4
; VGPRBlocks: 0
; NumSGPRsForWavesPerEU: 34
; NumVGPRsForWavesPerEU: 7
; Occupancy: 16
; WaveLimiterHint : 0
; COMPUTE_PGM_RSRC2:SCRATCH_EN: 0
; COMPUTE_PGM_RSRC2:USER_SGPR: 14
; COMPUTE_PGM_RSRC2:TRAP_HANDLER: 0
; COMPUTE_PGM_RSRC2:TGID_X_EN: 1
; COMPUTE_PGM_RSRC2:TGID_Y_EN: 0
; COMPUTE_PGM_RSRC2:TGID_Z_EN: 1
; COMPUTE_PGM_RSRC2:TIDIG_COMP_CNT: 0
	.section	.text._ZL19rocblas_copy_kernelIiLi256EPKDF16_PDF16_EviT1_lT_lT2_lS4_li,"axG",@progbits,_ZL19rocblas_copy_kernelIiLi256EPKDF16_PDF16_EviT1_lT_lT2_lS4_li,comdat
	.globl	_ZL19rocblas_copy_kernelIiLi256EPKDF16_PDF16_EviT1_lT_lT2_lS4_li ; -- Begin function _ZL19rocblas_copy_kernelIiLi256EPKDF16_PDF16_EviT1_lT_lT2_lS4_li
	.p2align	8
	.type	_ZL19rocblas_copy_kernelIiLi256EPKDF16_PDF16_EviT1_lT_lT2_lS4_li,@function
_ZL19rocblas_copy_kernelIiLi256EPKDF16_PDF16_EviT1_lT_lT2_lS4_li: ; @_ZL19rocblas_copy_kernelIiLi256EPKDF16_PDF16_EviT1_lT_lT2_lS4_li
; %bb.0:
	s_load_b32 s2, s[0:1], 0x0
	v_lshl_or_b32 v0, s14, 8, v0
	v_mov_b32_e32 v1, 0
	s_waitcnt lgkmcnt(0)
	s_ashr_i32 s3, s2, 31
	s_delay_alu instid0(VALU_DEP_1) | instid1(SALU_CYCLE_1)
	v_cmp_gt_i64_e32 vcc_lo, s[2:3], v[0:1]
	s_and_saveexec_b32 s2, vcc_lo
	s_cbranch_execz .LBB5_2
; %bb.1:
	s_clause 0x5
	s_load_b32 s12, s[0:1], 0x18
	s_load_b32 s13, s[0:1], 0x38
	s_load_b64 s[8:9], s[0:1], 0x40
	s_load_b128 s[4:7], s[0:1], 0x20
	s_load_b64 s[10:11], s[0:1], 0x30
	s_load_b128 s[0:3], s[0:1], 0x8
	s_waitcnt lgkmcnt(0)
	v_mad_u64_u32 v[1:2], null, s12, v0, 0
	s_ashr_i32 s12, s12, 31
	s_mul_i32 s9, s15, s9
	s_mul_hi_u32 s16, s15, s8
	s_mul_i32 s8, s15, s8
	s_add_i32 s9, s16, s9
	s_ashr_i32 s14, s13, 31
	s_delay_alu instid0(VALU_DEP_1)
	v_mad_u64_u32 v[3:4], null, s12, v0, v[2:3]
	s_lshl_b64 s[8:9], s[8:9], 1
	s_mul_i32 s5, s15, s5
	s_add_u32 s8, s6, s8
	s_addc_u32 s9, s7, s9
	s_lshl_b64 s[6:7], s[10:11], 1
	s_mul_hi_u32 s16, s15, s4
	s_delay_alu instid0(VALU_DEP_1)
	v_mov_b32_e32 v2, v3
	s_add_u32 s6, s8, s6
	s_mul_i32 s4, s15, s4
	s_addc_u32 s7, s9, s7
	s_add_i32 s5, s16, s5
	v_lshlrev_b64 v[1:2], 1, v[1:2]
	s_lshl_b64 s[4:5], s[4:5], 1
	s_delay_alu instid0(SALU_CYCLE_1) | instskip(SKIP_2) | instid1(SALU_CYCLE_1)
	s_add_u32 s4, s0, s4
	s_addc_u32 s5, s1, s5
	s_lshl_b64 s[0:1], s[2:3], 1
	s_add_u32 s0, s4, s0
	s_addc_u32 s1, s5, s1
	v_add_co_u32 v1, vcc_lo, s0, v1
	v_add_co_ci_u32_e32 v2, vcc_lo, s1, v2, vcc_lo
	global_load_u16 v5, v[1:2], off
	v_mad_u64_u32 v[1:2], null, s13, v0, 0
	s_delay_alu instid0(VALU_DEP_1) | instskip(NEXT) | instid1(VALU_DEP_1)
	v_mad_u64_u32 v[3:4], null, s14, v0, v[2:3]
	v_mov_b32_e32 v2, v3
	s_delay_alu instid0(VALU_DEP_1) | instskip(NEXT) | instid1(VALU_DEP_1)
	v_lshlrev_b64 v[0:1], 1, v[1:2]
	v_add_co_u32 v0, vcc_lo, s6, v0
	s_delay_alu instid0(VALU_DEP_2)
	v_add_co_ci_u32_e32 v1, vcc_lo, s7, v1, vcc_lo
	s_waitcnt vmcnt(0)
	global_store_b16 v[0:1], v5, off
.LBB5_2:
	s_nop 0
	s_sendmsg sendmsg(MSG_DEALLOC_VGPRS)
	s_endpgm
	.section	.rodata,"a",@progbits
	.p2align	6, 0x0
	.amdhsa_kernel _ZL19rocblas_copy_kernelIiLi256EPKDF16_PDF16_EviT1_lT_lT2_lS4_li
		.amdhsa_group_segment_fixed_size 0
		.amdhsa_private_segment_fixed_size 0
		.amdhsa_kernarg_size 76
		.amdhsa_user_sgpr_count 14
		.amdhsa_user_sgpr_dispatch_ptr 0
		.amdhsa_user_sgpr_queue_ptr 0
		.amdhsa_user_sgpr_kernarg_segment_ptr 1
		.amdhsa_user_sgpr_dispatch_id 0
		.amdhsa_user_sgpr_private_segment_size 0
		.amdhsa_wavefront_size32 1
		.amdhsa_uses_dynamic_stack 0
		.amdhsa_enable_private_segment 0
		.amdhsa_system_sgpr_workgroup_id_x 1
		.amdhsa_system_sgpr_workgroup_id_y 0
		.amdhsa_system_sgpr_workgroup_id_z 1
		.amdhsa_system_sgpr_workgroup_info 0
		.amdhsa_system_vgpr_workitem_id 0
		.amdhsa_next_free_vgpr 6
		.amdhsa_next_free_sgpr 17
		.amdhsa_reserve_vcc 1
		.amdhsa_float_round_mode_32 0
		.amdhsa_float_round_mode_16_64 0
		.amdhsa_float_denorm_mode_32 3
		.amdhsa_float_denorm_mode_16_64 3
		.amdhsa_dx10_clamp 1
		.amdhsa_ieee_mode 1
		.amdhsa_fp16_overflow 0
		.amdhsa_workgroup_processor_mode 1
		.amdhsa_memory_ordered 1
		.amdhsa_forward_progress 0
		.amdhsa_shared_vgpr_count 0
		.amdhsa_exception_fp_ieee_invalid_op 0
		.amdhsa_exception_fp_denorm_src 0
		.amdhsa_exception_fp_ieee_div_zero 0
		.amdhsa_exception_fp_ieee_overflow 0
		.amdhsa_exception_fp_ieee_underflow 0
		.amdhsa_exception_fp_ieee_inexact 0
		.amdhsa_exception_int_div_zero 0
	.end_amdhsa_kernel
	.section	.text._ZL19rocblas_copy_kernelIiLi256EPKDF16_PDF16_EviT1_lT_lT2_lS4_li,"axG",@progbits,_ZL19rocblas_copy_kernelIiLi256EPKDF16_PDF16_EviT1_lT_lT2_lS4_li,comdat
.Lfunc_end5:
	.size	_ZL19rocblas_copy_kernelIiLi256EPKDF16_PDF16_EviT1_lT_lT2_lS4_li, .Lfunc_end5-_ZL19rocblas_copy_kernelIiLi256EPKDF16_PDF16_EviT1_lT_lT2_lS4_li
                                        ; -- End function
	.section	.AMDGPU.csdata,"",@progbits
; Kernel info:
; codeLenInByte = 324
; NumSgprs: 19
; NumVgprs: 6
; ScratchSize: 0
; MemoryBound: 0
; FloatMode: 240
; IeeeMode: 1
; LDSByteSize: 0 bytes/workgroup (compile time only)
; SGPRBlocks: 2
; VGPRBlocks: 0
; NumSGPRsForWavesPerEU: 19
; NumVGPRsForWavesPerEU: 6
; Occupancy: 16
; WaveLimiterHint : 0
; COMPUTE_PGM_RSRC2:SCRATCH_EN: 0
; COMPUTE_PGM_RSRC2:USER_SGPR: 14
; COMPUTE_PGM_RSRC2:TRAP_HANDLER: 0
; COMPUTE_PGM_RSRC2:TGID_X_EN: 1
; COMPUTE_PGM_RSRC2:TGID_Y_EN: 0
; COMPUTE_PGM_RSRC2:TGID_Z_EN: 1
; COMPUTE_PGM_RSRC2:TIDIG_COMP_CNT: 0
	.section	.text._ZL19rocblas_copy_kernelIlLi256EPKDF16_PDF16_EviT1_lT_lT2_lS4_li,"axG",@progbits,_ZL19rocblas_copy_kernelIlLi256EPKDF16_PDF16_EviT1_lT_lT2_lS4_li,comdat
	.globl	_ZL19rocblas_copy_kernelIlLi256EPKDF16_PDF16_EviT1_lT_lT2_lS4_li ; -- Begin function _ZL19rocblas_copy_kernelIlLi256EPKDF16_PDF16_EviT1_lT_lT2_lS4_li
	.p2align	8
	.type	_ZL19rocblas_copy_kernelIlLi256EPKDF16_PDF16_EviT1_lT_lT2_lS4_li,@function
_ZL19rocblas_copy_kernelIlLi256EPKDF16_PDF16_EviT1_lT_lT2_lS4_li: ; @_ZL19rocblas_copy_kernelIlLi256EPKDF16_PDF16_EviT1_lT_lT2_lS4_li
; %bb.0:
	s_load_b32 s2, s[0:1], 0x0
	v_lshl_or_b32 v0, s14, 8, v0
	v_mov_b32_e32 v1, 0
	s_waitcnt lgkmcnt(0)
	s_ashr_i32 s3, s2, 31
	s_delay_alu instid0(VALU_DEP_1) | instid1(SALU_CYCLE_1)
	v_cmp_gt_i64_e32 vcc_lo, s[2:3], v[0:1]
	s_and_saveexec_b32 s2, vcc_lo
	s_cbranch_execz .LBB6_2
; %bb.1:
	s_load_b512 s[16:31], s[0:1], 0x8
	s_waitcnt lgkmcnt(0)
	v_mad_u64_u32 v[1:2], null, v0, s20, 0
	s_mul_i32 s1, s15, s31
	s_mul_hi_u32 s2, s15, s30
	s_mul_i32 s0, s15, s30
	s_add_i32 s1, s2, s1
	s_mul_i32 s3, s15, s23
	s_lshl_b64 s[0:1], s[0:1], 1
	s_delay_alu instid0(VALU_DEP_1)
	v_mad_u64_u32 v[3:4], null, v0, s21, v[2:3]
	s_add_u32 s5, s24, s0
	s_addc_u32 s6, s25, s1
	s_lshl_b64 s[0:1], s[26:27], 1
	s_mul_hi_u32 s4, s15, s22
	s_add_u32 s5, s5, s0
	s_mul_i32 s2, s15, s22
	s_delay_alu instid0(VALU_DEP_1) | instskip(SKIP_2) | instid1(SALU_CYCLE_1)
	v_mov_b32_e32 v2, v3
	s_addc_u32 s6, s6, s1
	s_add_i32 s3, s4, s3
	s_lshl_b64 s[0:1], s[2:3], 1
	s_delay_alu instid0(VALU_DEP_1) | instskip(SKIP_3) | instid1(SALU_CYCLE_1)
	v_lshlrev_b64 v[1:2], 1, v[1:2]
	s_add_u32 s2, s16, s0
	s_addc_u32 s3, s17, s1
	s_lshl_b64 s[0:1], s[18:19], 1
	s_add_u32 s0, s2, s0
	s_addc_u32 s1, s3, s1
	v_add_co_u32 v1, vcc_lo, s0, v1
	v_add_co_ci_u32_e32 v2, vcc_lo, s1, v2, vcc_lo
	global_load_u16 v5, v[1:2], off
	v_mad_u64_u32 v[1:2], null, v0, s28, 0
	s_delay_alu instid0(VALU_DEP_1) | instskip(NEXT) | instid1(VALU_DEP_1)
	v_mad_u64_u32 v[3:4], null, v0, s29, v[2:3]
	v_mov_b32_e32 v2, v3
	s_delay_alu instid0(VALU_DEP_1) | instskip(NEXT) | instid1(VALU_DEP_1)
	v_lshlrev_b64 v[0:1], 1, v[1:2]
	v_add_co_u32 v0, vcc_lo, s5, v0
	s_delay_alu instid0(VALU_DEP_2)
	v_add_co_ci_u32_e32 v1, vcc_lo, s6, v1, vcc_lo
	s_waitcnt vmcnt(0)
	global_store_b16 v[0:1], v5, off
.LBB6_2:
	s_nop 0
	s_sendmsg sendmsg(MSG_DEALLOC_VGPRS)
	s_endpgm
	.section	.rodata,"a",@progbits
	.p2align	6, 0x0
	.amdhsa_kernel _ZL19rocblas_copy_kernelIlLi256EPKDF16_PDF16_EviT1_lT_lT2_lS4_li
		.amdhsa_group_segment_fixed_size 0
		.amdhsa_private_segment_fixed_size 0
		.amdhsa_kernarg_size 76
		.amdhsa_user_sgpr_count 14
		.amdhsa_user_sgpr_dispatch_ptr 0
		.amdhsa_user_sgpr_queue_ptr 0
		.amdhsa_user_sgpr_kernarg_segment_ptr 1
		.amdhsa_user_sgpr_dispatch_id 0
		.amdhsa_user_sgpr_private_segment_size 0
		.amdhsa_wavefront_size32 1
		.amdhsa_uses_dynamic_stack 0
		.amdhsa_enable_private_segment 0
		.amdhsa_system_sgpr_workgroup_id_x 1
		.amdhsa_system_sgpr_workgroup_id_y 0
		.amdhsa_system_sgpr_workgroup_id_z 1
		.amdhsa_system_sgpr_workgroup_info 0
		.amdhsa_system_vgpr_workitem_id 0
		.amdhsa_next_free_vgpr 6
		.amdhsa_next_free_sgpr 32
		.amdhsa_reserve_vcc 1
		.amdhsa_float_round_mode_32 0
		.amdhsa_float_round_mode_16_64 0
		.amdhsa_float_denorm_mode_32 3
		.amdhsa_float_denorm_mode_16_64 3
		.amdhsa_dx10_clamp 1
		.amdhsa_ieee_mode 1
		.amdhsa_fp16_overflow 0
		.amdhsa_workgroup_processor_mode 1
		.amdhsa_memory_ordered 1
		.amdhsa_forward_progress 0
		.amdhsa_shared_vgpr_count 0
		.amdhsa_exception_fp_ieee_invalid_op 0
		.amdhsa_exception_fp_denorm_src 0
		.amdhsa_exception_fp_ieee_div_zero 0
		.amdhsa_exception_fp_ieee_overflow 0
		.amdhsa_exception_fp_ieee_underflow 0
		.amdhsa_exception_fp_ieee_inexact 0
		.amdhsa_exception_int_div_zero 0
	.end_amdhsa_kernel
	.section	.text._ZL19rocblas_copy_kernelIlLi256EPKDF16_PDF16_EviT1_lT_lT2_lS4_li,"axG",@progbits,_ZL19rocblas_copy_kernelIlLi256EPKDF16_PDF16_EviT1_lT_lT2_lS4_li,comdat
.Lfunc_end6:
	.size	_ZL19rocblas_copy_kernelIlLi256EPKDF16_PDF16_EviT1_lT_lT2_lS4_li, .Lfunc_end6-_ZL19rocblas_copy_kernelIlLi256EPKDF16_PDF16_EviT1_lT_lT2_lS4_li
                                        ; -- End function
	.section	.AMDGPU.csdata,"",@progbits
; Kernel info:
; codeLenInByte = 272
; NumSgprs: 34
; NumVgprs: 6
; ScratchSize: 0
; MemoryBound: 0
; FloatMode: 240
; IeeeMode: 1
; LDSByteSize: 0 bytes/workgroup (compile time only)
; SGPRBlocks: 4
; VGPRBlocks: 0
; NumSGPRsForWavesPerEU: 34
; NumVGPRsForWavesPerEU: 6
; Occupancy: 16
; WaveLimiterHint : 0
; COMPUTE_PGM_RSRC2:SCRATCH_EN: 0
; COMPUTE_PGM_RSRC2:USER_SGPR: 14
; COMPUTE_PGM_RSRC2:TRAP_HANDLER: 0
; COMPUTE_PGM_RSRC2:TGID_X_EN: 1
; COMPUTE_PGM_RSRC2:TGID_Y_EN: 0
; COMPUTE_PGM_RSRC2:TGID_Z_EN: 1
; COMPUTE_PGM_RSRC2:TIDIG_COMP_CNT: 0
	.section	.text._ZL19rocblas_copy_kernelIiLi256EPK19rocblas_complex_numIfEPS1_EviT1_lT_lT2_lS6_li,"axG",@progbits,_ZL19rocblas_copy_kernelIiLi256EPK19rocblas_complex_numIfEPS1_EviT1_lT_lT2_lS6_li,comdat
	.globl	_ZL19rocblas_copy_kernelIiLi256EPK19rocblas_complex_numIfEPS1_EviT1_lT_lT2_lS6_li ; -- Begin function _ZL19rocblas_copy_kernelIiLi256EPK19rocblas_complex_numIfEPS1_EviT1_lT_lT2_lS6_li
	.p2align	8
	.type	_ZL19rocblas_copy_kernelIiLi256EPK19rocblas_complex_numIfEPS1_EviT1_lT_lT2_lS6_li,@function
_ZL19rocblas_copy_kernelIiLi256EPK19rocblas_complex_numIfEPS1_EviT1_lT_lT2_lS6_li: ; @_ZL19rocblas_copy_kernelIiLi256EPK19rocblas_complex_numIfEPS1_EviT1_lT_lT2_lS6_li
; %bb.0:
	s_load_b32 s2, s[0:1], 0x0
	v_lshl_or_b32 v0, s14, 8, v0
	v_mov_b32_e32 v1, 0
	s_waitcnt lgkmcnt(0)
	s_ashr_i32 s3, s2, 31
	s_delay_alu instid0(VALU_DEP_1) | instid1(SALU_CYCLE_1)
	v_cmp_gt_i64_e32 vcc_lo, s[2:3], v[0:1]
	s_and_saveexec_b32 s2, vcc_lo
	s_cbranch_execz .LBB7_2
; %bb.1:
	s_clause 0x5
	s_load_b32 s12, s[0:1], 0x18
	s_load_b32 s13, s[0:1], 0x38
	s_load_b64 s[8:9], s[0:1], 0x40
	s_load_b128 s[4:7], s[0:1], 0x20
	s_load_b64 s[10:11], s[0:1], 0x30
	s_load_b128 s[0:3], s[0:1], 0x8
	s_waitcnt lgkmcnt(0)
	v_mad_u64_u32 v[1:2], null, s12, v0, 0
	s_ashr_i32 s12, s12, 31
	s_mul_i32 s9, s15, s9
	s_mul_hi_u32 s16, s15, s8
	s_mul_i32 s8, s15, s8
	s_add_i32 s9, s16, s9
	s_ashr_i32 s14, s13, 31
	s_delay_alu instid0(VALU_DEP_1)
	v_mad_u64_u32 v[3:4], null, s12, v0, v[2:3]
	s_lshl_b64 s[8:9], s[8:9], 3
	s_mul_i32 s5, s15, s5
	s_add_u32 s8, s6, s8
	s_addc_u32 s9, s7, s9
	s_lshl_b64 s[6:7], s[10:11], 3
	s_mul_hi_u32 s16, s15, s4
	s_delay_alu instid0(VALU_DEP_1)
	v_mov_b32_e32 v2, v3
	s_add_u32 s6, s8, s6
	s_mul_i32 s4, s15, s4
	s_addc_u32 s7, s9, s7
	s_add_i32 s5, s16, s5
	v_lshlrev_b64 v[1:2], 3, v[1:2]
	s_lshl_b64 s[4:5], s[4:5], 3
	v_mad_u64_u32 v[3:4], null, s13, v0, 0
	s_add_u32 s4, s0, s4
	s_addc_u32 s5, s1, s5
	s_lshl_b64 s[0:1], s[2:3], 3
	s_delay_alu instid0(SALU_CYCLE_1)
	s_add_u32 s0, s4, s0
	s_addc_u32 s1, s5, s1
	v_add_co_u32 v1, vcc_lo, s0, v1
	v_add_co_ci_u32_e32 v2, vcc_lo, s1, v2, vcc_lo
	v_mad_u64_u32 v[5:6], null, s14, v0, v[4:5]
	global_load_b64 v[1:2], v[1:2], off
	v_mov_b32_e32 v4, v5
	s_delay_alu instid0(VALU_DEP_1) | instskip(NEXT) | instid1(VALU_DEP_1)
	v_lshlrev_b64 v[3:4], 3, v[3:4]
	v_add_co_u32 v3, vcc_lo, s6, v3
	s_delay_alu instid0(VALU_DEP_2)
	v_add_co_ci_u32_e32 v4, vcc_lo, s7, v4, vcc_lo
	s_waitcnt vmcnt(0)
	global_store_b64 v[3:4], v[1:2], off
.LBB7_2:
	s_nop 0
	s_sendmsg sendmsg(MSG_DEALLOC_VGPRS)
	s_endpgm
	.section	.rodata,"a",@progbits
	.p2align	6, 0x0
	.amdhsa_kernel _ZL19rocblas_copy_kernelIiLi256EPK19rocblas_complex_numIfEPS1_EviT1_lT_lT2_lS6_li
		.amdhsa_group_segment_fixed_size 0
		.amdhsa_private_segment_fixed_size 0
		.amdhsa_kernarg_size 76
		.amdhsa_user_sgpr_count 14
		.amdhsa_user_sgpr_dispatch_ptr 0
		.amdhsa_user_sgpr_queue_ptr 0
		.amdhsa_user_sgpr_kernarg_segment_ptr 1
		.amdhsa_user_sgpr_dispatch_id 0
		.amdhsa_user_sgpr_private_segment_size 0
		.amdhsa_wavefront_size32 1
		.amdhsa_uses_dynamic_stack 0
		.amdhsa_enable_private_segment 0
		.amdhsa_system_sgpr_workgroup_id_x 1
		.amdhsa_system_sgpr_workgroup_id_y 0
		.amdhsa_system_sgpr_workgroup_id_z 1
		.amdhsa_system_sgpr_workgroup_info 0
		.amdhsa_system_vgpr_workitem_id 0
		.amdhsa_next_free_vgpr 7
		.amdhsa_next_free_sgpr 17
		.amdhsa_reserve_vcc 1
		.amdhsa_float_round_mode_32 0
		.amdhsa_float_round_mode_16_64 0
		.amdhsa_float_denorm_mode_32 3
		.amdhsa_float_denorm_mode_16_64 3
		.amdhsa_dx10_clamp 1
		.amdhsa_ieee_mode 1
		.amdhsa_fp16_overflow 0
		.amdhsa_workgroup_processor_mode 1
		.amdhsa_memory_ordered 1
		.amdhsa_forward_progress 0
		.amdhsa_shared_vgpr_count 0
		.amdhsa_exception_fp_ieee_invalid_op 0
		.amdhsa_exception_fp_denorm_src 0
		.amdhsa_exception_fp_ieee_div_zero 0
		.amdhsa_exception_fp_ieee_overflow 0
		.amdhsa_exception_fp_ieee_underflow 0
		.amdhsa_exception_fp_ieee_inexact 0
		.amdhsa_exception_int_div_zero 0
	.end_amdhsa_kernel
	.section	.text._ZL19rocblas_copy_kernelIiLi256EPK19rocblas_complex_numIfEPS1_EviT1_lT_lT2_lS6_li,"axG",@progbits,_ZL19rocblas_copy_kernelIiLi256EPK19rocblas_complex_numIfEPS1_EviT1_lT_lT2_lS6_li,comdat
.Lfunc_end7:
	.size	_ZL19rocblas_copy_kernelIiLi256EPK19rocblas_complex_numIfEPS1_EviT1_lT_lT2_lS6_li, .Lfunc_end7-_ZL19rocblas_copy_kernelIiLi256EPK19rocblas_complex_numIfEPS1_EviT1_lT_lT2_lS6_li
                                        ; -- End function
	.section	.AMDGPU.csdata,"",@progbits
; Kernel info:
; codeLenInByte = 320
; NumSgprs: 19
; NumVgprs: 7
; ScratchSize: 0
; MemoryBound: 0
; FloatMode: 240
; IeeeMode: 1
; LDSByteSize: 0 bytes/workgroup (compile time only)
; SGPRBlocks: 2
; VGPRBlocks: 0
; NumSGPRsForWavesPerEU: 19
; NumVGPRsForWavesPerEU: 7
; Occupancy: 16
; WaveLimiterHint : 0
; COMPUTE_PGM_RSRC2:SCRATCH_EN: 0
; COMPUTE_PGM_RSRC2:USER_SGPR: 14
; COMPUTE_PGM_RSRC2:TRAP_HANDLER: 0
; COMPUTE_PGM_RSRC2:TGID_X_EN: 1
; COMPUTE_PGM_RSRC2:TGID_Y_EN: 0
; COMPUTE_PGM_RSRC2:TGID_Z_EN: 1
; COMPUTE_PGM_RSRC2:TIDIG_COMP_CNT: 0
	.section	.text._ZL19rocblas_copy_kernelIlLi256EPK19rocblas_complex_numIfEPS1_EviT1_lT_lT2_lS6_li,"axG",@progbits,_ZL19rocblas_copy_kernelIlLi256EPK19rocblas_complex_numIfEPS1_EviT1_lT_lT2_lS6_li,comdat
	.globl	_ZL19rocblas_copy_kernelIlLi256EPK19rocblas_complex_numIfEPS1_EviT1_lT_lT2_lS6_li ; -- Begin function _ZL19rocblas_copy_kernelIlLi256EPK19rocblas_complex_numIfEPS1_EviT1_lT_lT2_lS6_li
	.p2align	8
	.type	_ZL19rocblas_copy_kernelIlLi256EPK19rocblas_complex_numIfEPS1_EviT1_lT_lT2_lS6_li,@function
_ZL19rocblas_copy_kernelIlLi256EPK19rocblas_complex_numIfEPS1_EviT1_lT_lT2_lS6_li: ; @_ZL19rocblas_copy_kernelIlLi256EPK19rocblas_complex_numIfEPS1_EviT1_lT_lT2_lS6_li
; %bb.0:
	s_load_b32 s2, s[0:1], 0x0
	v_lshl_or_b32 v0, s14, 8, v0
	v_mov_b32_e32 v1, 0
	s_waitcnt lgkmcnt(0)
	s_ashr_i32 s3, s2, 31
	s_delay_alu instid0(VALU_DEP_1) | instid1(SALU_CYCLE_1)
	v_cmp_gt_i64_e32 vcc_lo, s[2:3], v[0:1]
	s_and_saveexec_b32 s2, vcc_lo
	s_cbranch_execz .LBB8_2
; %bb.1:
	s_load_b512 s[16:31], s[0:1], 0x8
	s_waitcnt lgkmcnt(0)
	v_mad_u64_u32 v[1:2], null, v0, s20, 0
	s_mul_i32 s1, s15, s31
	s_mul_hi_u32 s2, s15, s30
	s_mul_i32 s0, s15, s30
	s_add_i32 s1, s2, s1
	s_mul_i32 s3, s15, s23
	s_lshl_b64 s[0:1], s[0:1], 3
	s_delay_alu instid0(VALU_DEP_1)
	v_mad_u64_u32 v[3:4], null, v0, s21, v[2:3]
	s_add_u32 s5, s24, s0
	s_addc_u32 s6, s25, s1
	s_lshl_b64 s[0:1], s[26:27], 3
	s_mul_hi_u32 s4, s15, s22
	s_add_u32 s5, s5, s0
	s_mul_i32 s2, s15, s22
	s_delay_alu instid0(VALU_DEP_1)
	v_mov_b32_e32 v2, v3
	s_addc_u32 s6, s6, s1
	s_add_i32 s3, s4, s3
	v_mad_u64_u32 v[3:4], null, v0, s28, 0
	s_lshl_b64 s[0:1], s[2:3], 3
	v_lshlrev_b64 v[1:2], 3, v[1:2]
	s_add_u32 s2, s16, s0
	s_addc_u32 s3, s17, s1
	s_lshl_b64 s[0:1], s[18:19], 3
	s_delay_alu instid0(SALU_CYCLE_1)
	s_add_u32 s0, s2, s0
	s_addc_u32 s1, s3, s1
	v_add_co_u32 v1, vcc_lo, s0, v1
	v_add_co_ci_u32_e32 v2, vcc_lo, s1, v2, vcc_lo
	v_mad_u64_u32 v[5:6], null, v0, s29, v[4:5]
	global_load_b64 v[1:2], v[1:2], off
	v_mov_b32_e32 v4, v5
	s_delay_alu instid0(VALU_DEP_1) | instskip(NEXT) | instid1(VALU_DEP_1)
	v_lshlrev_b64 v[3:4], 3, v[3:4]
	v_add_co_u32 v3, vcc_lo, s5, v3
	s_delay_alu instid0(VALU_DEP_2)
	v_add_co_ci_u32_e32 v4, vcc_lo, s6, v4, vcc_lo
	s_waitcnt vmcnt(0)
	global_store_b64 v[3:4], v[1:2], off
.LBB8_2:
	s_nop 0
	s_sendmsg sendmsg(MSG_DEALLOC_VGPRS)
	s_endpgm
	.section	.rodata,"a",@progbits
	.p2align	6, 0x0
	.amdhsa_kernel _ZL19rocblas_copy_kernelIlLi256EPK19rocblas_complex_numIfEPS1_EviT1_lT_lT2_lS6_li
		.amdhsa_group_segment_fixed_size 0
		.amdhsa_private_segment_fixed_size 0
		.amdhsa_kernarg_size 76
		.amdhsa_user_sgpr_count 14
		.amdhsa_user_sgpr_dispatch_ptr 0
		.amdhsa_user_sgpr_queue_ptr 0
		.amdhsa_user_sgpr_kernarg_segment_ptr 1
		.amdhsa_user_sgpr_dispatch_id 0
		.amdhsa_user_sgpr_private_segment_size 0
		.amdhsa_wavefront_size32 1
		.amdhsa_uses_dynamic_stack 0
		.amdhsa_enable_private_segment 0
		.amdhsa_system_sgpr_workgroup_id_x 1
		.amdhsa_system_sgpr_workgroup_id_y 0
		.amdhsa_system_sgpr_workgroup_id_z 1
		.amdhsa_system_sgpr_workgroup_info 0
		.amdhsa_system_vgpr_workitem_id 0
		.amdhsa_next_free_vgpr 7
		.amdhsa_next_free_sgpr 32
		.amdhsa_reserve_vcc 1
		.amdhsa_float_round_mode_32 0
		.amdhsa_float_round_mode_16_64 0
		.amdhsa_float_denorm_mode_32 3
		.amdhsa_float_denorm_mode_16_64 3
		.amdhsa_dx10_clamp 1
		.amdhsa_ieee_mode 1
		.amdhsa_fp16_overflow 0
		.amdhsa_workgroup_processor_mode 1
		.amdhsa_memory_ordered 1
		.amdhsa_forward_progress 0
		.amdhsa_shared_vgpr_count 0
		.amdhsa_exception_fp_ieee_invalid_op 0
		.amdhsa_exception_fp_denorm_src 0
		.amdhsa_exception_fp_ieee_div_zero 0
		.amdhsa_exception_fp_ieee_overflow 0
		.amdhsa_exception_fp_ieee_underflow 0
		.amdhsa_exception_fp_ieee_inexact 0
		.amdhsa_exception_int_div_zero 0
	.end_amdhsa_kernel
	.section	.text._ZL19rocblas_copy_kernelIlLi256EPK19rocblas_complex_numIfEPS1_EviT1_lT_lT2_lS6_li,"axG",@progbits,_ZL19rocblas_copy_kernelIlLi256EPK19rocblas_complex_numIfEPS1_EviT1_lT_lT2_lS6_li,comdat
.Lfunc_end8:
	.size	_ZL19rocblas_copy_kernelIlLi256EPK19rocblas_complex_numIfEPS1_EviT1_lT_lT2_lS6_li, .Lfunc_end8-_ZL19rocblas_copy_kernelIlLi256EPK19rocblas_complex_numIfEPS1_EviT1_lT_lT2_lS6_li
                                        ; -- End function
	.section	.AMDGPU.csdata,"",@progbits
; Kernel info:
; codeLenInByte = 268
; NumSgprs: 34
; NumVgprs: 7
; ScratchSize: 0
; MemoryBound: 0
; FloatMode: 240
; IeeeMode: 1
; LDSByteSize: 0 bytes/workgroup (compile time only)
; SGPRBlocks: 4
; VGPRBlocks: 0
; NumSGPRsForWavesPerEU: 34
; NumVGPRsForWavesPerEU: 7
; Occupancy: 16
; WaveLimiterHint : 0
; COMPUTE_PGM_RSRC2:SCRATCH_EN: 0
; COMPUTE_PGM_RSRC2:USER_SGPR: 14
; COMPUTE_PGM_RSRC2:TRAP_HANDLER: 0
; COMPUTE_PGM_RSRC2:TGID_X_EN: 1
; COMPUTE_PGM_RSRC2:TGID_Y_EN: 0
; COMPUTE_PGM_RSRC2:TGID_Z_EN: 1
; COMPUTE_PGM_RSRC2:TIDIG_COMP_CNT: 0
	.section	.text._ZL19rocblas_copy_kernelIiLi256EPK19rocblas_complex_numIdEPS1_EviT1_lT_lT2_lS6_li,"axG",@progbits,_ZL19rocblas_copy_kernelIiLi256EPK19rocblas_complex_numIdEPS1_EviT1_lT_lT2_lS6_li,comdat
	.globl	_ZL19rocblas_copy_kernelIiLi256EPK19rocblas_complex_numIdEPS1_EviT1_lT_lT2_lS6_li ; -- Begin function _ZL19rocblas_copy_kernelIiLi256EPK19rocblas_complex_numIdEPS1_EviT1_lT_lT2_lS6_li
	.p2align	8
	.type	_ZL19rocblas_copy_kernelIiLi256EPK19rocblas_complex_numIdEPS1_EviT1_lT_lT2_lS6_li,@function
_ZL19rocblas_copy_kernelIiLi256EPK19rocblas_complex_numIdEPS1_EviT1_lT_lT2_lS6_li: ; @_ZL19rocblas_copy_kernelIiLi256EPK19rocblas_complex_numIdEPS1_EviT1_lT_lT2_lS6_li
; %bb.0:
	s_load_b32 s2, s[0:1], 0x0
	v_lshl_or_b32 v0, s14, 8, v0
	v_mov_b32_e32 v1, 0
	s_waitcnt lgkmcnt(0)
	s_ashr_i32 s3, s2, 31
	s_delay_alu instid0(VALU_DEP_1) | instid1(SALU_CYCLE_1)
	v_cmp_gt_i64_e32 vcc_lo, s[2:3], v[0:1]
	s_and_saveexec_b32 s2, vcc_lo
	s_cbranch_execz .LBB9_2
; %bb.1:
	s_clause 0x5
	s_load_b32 s12, s[0:1], 0x18
	s_load_b32 s13, s[0:1], 0x38
	s_load_b64 s[8:9], s[0:1], 0x40
	s_load_b128 s[4:7], s[0:1], 0x20
	s_load_b64 s[10:11], s[0:1], 0x30
	s_load_b128 s[0:3], s[0:1], 0x8
	s_waitcnt lgkmcnt(0)
	v_mad_u64_u32 v[1:2], null, s12, v0, 0
	s_ashr_i32 s12, s12, 31
	s_mul_i32 s9, s15, s9
	s_mul_hi_u32 s16, s15, s8
	s_mul_i32 s8, s15, s8
	s_add_i32 s9, s16, s9
	s_ashr_i32 s14, s13, 31
	s_delay_alu instid0(VALU_DEP_1)
	v_mad_u64_u32 v[3:4], null, s12, v0, v[2:3]
	s_lshl_b64 s[8:9], s[8:9], 4
	s_mul_i32 s5, s15, s5
	s_add_u32 s8, s6, s8
	s_addc_u32 s9, s7, s9
	s_lshl_b64 s[6:7], s[10:11], 4
	s_mul_hi_u32 s16, s15, s4
	s_delay_alu instid0(VALU_DEP_1)
	v_mov_b32_e32 v2, v3
	s_add_u32 s6, s8, s6
	s_mul_i32 s4, s15, s4
	s_addc_u32 s7, s9, s7
	s_add_i32 s5, s16, s5
	v_lshlrev_b64 v[1:2], 4, v[1:2]
	s_lshl_b64 s[4:5], s[4:5], 4
	v_mad_u64_u32 v[5:6], null, s13, v0, 0
	s_add_u32 s4, s0, s4
	s_addc_u32 s5, s1, s5
	s_lshl_b64 s[0:1], s[2:3], 4
	s_delay_alu instid0(SALU_CYCLE_1)
	s_add_u32 s0, s4, s0
	s_addc_u32 s1, s5, s1
	v_add_co_u32 v1, vcc_lo, s0, v1
	v_add_co_ci_u32_e32 v2, vcc_lo, s1, v2, vcc_lo
	v_mad_u64_u32 v[7:8], null, s14, v0, v[6:7]
	global_load_b128 v[1:4], v[1:2], off
	v_mov_b32_e32 v6, v7
	s_delay_alu instid0(VALU_DEP_1) | instskip(NEXT) | instid1(VALU_DEP_1)
	v_lshlrev_b64 v[5:6], 4, v[5:6]
	v_add_co_u32 v5, vcc_lo, s6, v5
	s_delay_alu instid0(VALU_DEP_2)
	v_add_co_ci_u32_e32 v6, vcc_lo, s7, v6, vcc_lo
	s_waitcnt vmcnt(0)
	global_store_b128 v[5:6], v[1:4], off
.LBB9_2:
	s_nop 0
	s_sendmsg sendmsg(MSG_DEALLOC_VGPRS)
	s_endpgm
	.section	.rodata,"a",@progbits
	.p2align	6, 0x0
	.amdhsa_kernel _ZL19rocblas_copy_kernelIiLi256EPK19rocblas_complex_numIdEPS1_EviT1_lT_lT2_lS6_li
		.amdhsa_group_segment_fixed_size 0
		.amdhsa_private_segment_fixed_size 0
		.amdhsa_kernarg_size 76
		.amdhsa_user_sgpr_count 14
		.amdhsa_user_sgpr_dispatch_ptr 0
		.amdhsa_user_sgpr_queue_ptr 0
		.amdhsa_user_sgpr_kernarg_segment_ptr 1
		.amdhsa_user_sgpr_dispatch_id 0
		.amdhsa_user_sgpr_private_segment_size 0
		.amdhsa_wavefront_size32 1
		.amdhsa_uses_dynamic_stack 0
		.amdhsa_enable_private_segment 0
		.amdhsa_system_sgpr_workgroup_id_x 1
		.amdhsa_system_sgpr_workgroup_id_y 0
		.amdhsa_system_sgpr_workgroup_id_z 1
		.amdhsa_system_sgpr_workgroup_info 0
		.amdhsa_system_vgpr_workitem_id 0
		.amdhsa_next_free_vgpr 9
		.amdhsa_next_free_sgpr 17
		.amdhsa_reserve_vcc 1
		.amdhsa_float_round_mode_32 0
		.amdhsa_float_round_mode_16_64 0
		.amdhsa_float_denorm_mode_32 3
		.amdhsa_float_denorm_mode_16_64 3
		.amdhsa_dx10_clamp 1
		.amdhsa_ieee_mode 1
		.amdhsa_fp16_overflow 0
		.amdhsa_workgroup_processor_mode 1
		.amdhsa_memory_ordered 1
		.amdhsa_forward_progress 0
		.amdhsa_shared_vgpr_count 0
		.amdhsa_exception_fp_ieee_invalid_op 0
		.amdhsa_exception_fp_denorm_src 0
		.amdhsa_exception_fp_ieee_div_zero 0
		.amdhsa_exception_fp_ieee_overflow 0
		.amdhsa_exception_fp_ieee_underflow 0
		.amdhsa_exception_fp_ieee_inexact 0
		.amdhsa_exception_int_div_zero 0
	.end_amdhsa_kernel
	.section	.text._ZL19rocblas_copy_kernelIiLi256EPK19rocblas_complex_numIdEPS1_EviT1_lT_lT2_lS6_li,"axG",@progbits,_ZL19rocblas_copy_kernelIiLi256EPK19rocblas_complex_numIdEPS1_EviT1_lT_lT2_lS6_li,comdat
.Lfunc_end9:
	.size	_ZL19rocblas_copy_kernelIiLi256EPK19rocblas_complex_numIdEPS1_EviT1_lT_lT2_lS6_li, .Lfunc_end9-_ZL19rocblas_copy_kernelIiLi256EPK19rocblas_complex_numIdEPS1_EviT1_lT_lT2_lS6_li
                                        ; -- End function
	.section	.AMDGPU.csdata,"",@progbits
; Kernel info:
; codeLenInByte = 320
; NumSgprs: 19
; NumVgprs: 9
; ScratchSize: 0
; MemoryBound: 0
; FloatMode: 240
; IeeeMode: 1
; LDSByteSize: 0 bytes/workgroup (compile time only)
; SGPRBlocks: 2
; VGPRBlocks: 1
; NumSGPRsForWavesPerEU: 19
; NumVGPRsForWavesPerEU: 9
; Occupancy: 16
; WaveLimiterHint : 0
; COMPUTE_PGM_RSRC2:SCRATCH_EN: 0
; COMPUTE_PGM_RSRC2:USER_SGPR: 14
; COMPUTE_PGM_RSRC2:TRAP_HANDLER: 0
; COMPUTE_PGM_RSRC2:TGID_X_EN: 1
; COMPUTE_PGM_RSRC2:TGID_Y_EN: 0
; COMPUTE_PGM_RSRC2:TGID_Z_EN: 1
; COMPUTE_PGM_RSRC2:TIDIG_COMP_CNT: 0
	.section	.text._ZL19rocblas_copy_kernelIlLi256EPK19rocblas_complex_numIdEPS1_EviT1_lT_lT2_lS6_li,"axG",@progbits,_ZL19rocblas_copy_kernelIlLi256EPK19rocblas_complex_numIdEPS1_EviT1_lT_lT2_lS6_li,comdat
	.globl	_ZL19rocblas_copy_kernelIlLi256EPK19rocblas_complex_numIdEPS1_EviT1_lT_lT2_lS6_li ; -- Begin function _ZL19rocblas_copy_kernelIlLi256EPK19rocblas_complex_numIdEPS1_EviT1_lT_lT2_lS6_li
	.p2align	8
	.type	_ZL19rocblas_copy_kernelIlLi256EPK19rocblas_complex_numIdEPS1_EviT1_lT_lT2_lS6_li,@function
_ZL19rocblas_copy_kernelIlLi256EPK19rocblas_complex_numIdEPS1_EviT1_lT_lT2_lS6_li: ; @_ZL19rocblas_copy_kernelIlLi256EPK19rocblas_complex_numIdEPS1_EviT1_lT_lT2_lS6_li
; %bb.0:
	s_load_b32 s2, s[0:1], 0x0
	v_lshl_or_b32 v0, s14, 8, v0
	v_mov_b32_e32 v1, 0
	s_waitcnt lgkmcnt(0)
	s_ashr_i32 s3, s2, 31
	s_delay_alu instid0(VALU_DEP_1) | instid1(SALU_CYCLE_1)
	v_cmp_gt_i64_e32 vcc_lo, s[2:3], v[0:1]
	s_and_saveexec_b32 s2, vcc_lo
	s_cbranch_execz .LBB10_2
; %bb.1:
	s_load_b512 s[16:31], s[0:1], 0x8
	s_waitcnt lgkmcnt(0)
	v_mad_u64_u32 v[1:2], null, v0, s20, 0
	s_mul_i32 s1, s15, s31
	s_mul_hi_u32 s2, s15, s30
	s_mul_i32 s0, s15, s30
	s_add_i32 s1, s2, s1
	s_mul_i32 s3, s15, s23
	s_lshl_b64 s[0:1], s[0:1], 4
	s_delay_alu instid0(VALU_DEP_1)
	v_mad_u64_u32 v[3:4], null, v0, s21, v[2:3]
	s_add_u32 s5, s24, s0
	s_addc_u32 s6, s25, s1
	s_lshl_b64 s[0:1], s[26:27], 4
	s_mul_hi_u32 s4, s15, s22
	s_add_u32 s5, s5, s0
	s_mul_i32 s2, s15, s22
	s_delay_alu instid0(VALU_DEP_1)
	v_mov_b32_e32 v2, v3
	s_addc_u32 s6, s6, s1
	s_add_i32 s3, s4, s3
	v_mad_u64_u32 v[5:6], null, v0, s28, 0
	s_lshl_b64 s[0:1], s[2:3], 4
	v_lshlrev_b64 v[1:2], 4, v[1:2]
	s_add_u32 s2, s16, s0
	s_addc_u32 s3, s17, s1
	s_lshl_b64 s[0:1], s[18:19], 4
	s_delay_alu instid0(SALU_CYCLE_1)
	s_add_u32 s0, s2, s0
	s_addc_u32 s1, s3, s1
	v_add_co_u32 v1, vcc_lo, s0, v1
	v_add_co_ci_u32_e32 v2, vcc_lo, s1, v2, vcc_lo
	v_mad_u64_u32 v[7:8], null, v0, s29, v[6:7]
	global_load_b128 v[1:4], v[1:2], off
	v_mov_b32_e32 v6, v7
	s_delay_alu instid0(VALU_DEP_1) | instskip(NEXT) | instid1(VALU_DEP_1)
	v_lshlrev_b64 v[5:6], 4, v[5:6]
	v_add_co_u32 v5, vcc_lo, s5, v5
	s_delay_alu instid0(VALU_DEP_2)
	v_add_co_ci_u32_e32 v6, vcc_lo, s6, v6, vcc_lo
	s_waitcnt vmcnt(0)
	global_store_b128 v[5:6], v[1:4], off
.LBB10_2:
	s_nop 0
	s_sendmsg sendmsg(MSG_DEALLOC_VGPRS)
	s_endpgm
	.section	.rodata,"a",@progbits
	.p2align	6, 0x0
	.amdhsa_kernel _ZL19rocblas_copy_kernelIlLi256EPK19rocblas_complex_numIdEPS1_EviT1_lT_lT2_lS6_li
		.amdhsa_group_segment_fixed_size 0
		.amdhsa_private_segment_fixed_size 0
		.amdhsa_kernarg_size 76
		.amdhsa_user_sgpr_count 14
		.amdhsa_user_sgpr_dispatch_ptr 0
		.amdhsa_user_sgpr_queue_ptr 0
		.amdhsa_user_sgpr_kernarg_segment_ptr 1
		.amdhsa_user_sgpr_dispatch_id 0
		.amdhsa_user_sgpr_private_segment_size 0
		.amdhsa_wavefront_size32 1
		.amdhsa_uses_dynamic_stack 0
		.amdhsa_enable_private_segment 0
		.amdhsa_system_sgpr_workgroup_id_x 1
		.amdhsa_system_sgpr_workgroup_id_y 0
		.amdhsa_system_sgpr_workgroup_id_z 1
		.amdhsa_system_sgpr_workgroup_info 0
		.amdhsa_system_vgpr_workitem_id 0
		.amdhsa_next_free_vgpr 9
		.amdhsa_next_free_sgpr 32
		.amdhsa_reserve_vcc 1
		.amdhsa_float_round_mode_32 0
		.amdhsa_float_round_mode_16_64 0
		.amdhsa_float_denorm_mode_32 3
		.amdhsa_float_denorm_mode_16_64 3
		.amdhsa_dx10_clamp 1
		.amdhsa_ieee_mode 1
		.amdhsa_fp16_overflow 0
		.amdhsa_workgroup_processor_mode 1
		.amdhsa_memory_ordered 1
		.amdhsa_forward_progress 0
		.amdhsa_shared_vgpr_count 0
		.amdhsa_exception_fp_ieee_invalid_op 0
		.amdhsa_exception_fp_denorm_src 0
		.amdhsa_exception_fp_ieee_div_zero 0
		.amdhsa_exception_fp_ieee_overflow 0
		.amdhsa_exception_fp_ieee_underflow 0
		.amdhsa_exception_fp_ieee_inexact 0
		.amdhsa_exception_int_div_zero 0
	.end_amdhsa_kernel
	.section	.text._ZL19rocblas_copy_kernelIlLi256EPK19rocblas_complex_numIdEPS1_EviT1_lT_lT2_lS6_li,"axG",@progbits,_ZL19rocblas_copy_kernelIlLi256EPK19rocblas_complex_numIdEPS1_EviT1_lT_lT2_lS6_li,comdat
.Lfunc_end10:
	.size	_ZL19rocblas_copy_kernelIlLi256EPK19rocblas_complex_numIdEPS1_EviT1_lT_lT2_lS6_li, .Lfunc_end10-_ZL19rocblas_copy_kernelIlLi256EPK19rocblas_complex_numIdEPS1_EviT1_lT_lT2_lS6_li
                                        ; -- End function
	.section	.AMDGPU.csdata,"",@progbits
; Kernel info:
; codeLenInByte = 268
; NumSgprs: 34
; NumVgprs: 9
; ScratchSize: 0
; MemoryBound: 0
; FloatMode: 240
; IeeeMode: 1
; LDSByteSize: 0 bytes/workgroup (compile time only)
; SGPRBlocks: 4
; VGPRBlocks: 1
; NumSGPRsForWavesPerEU: 34
; NumVGPRsForWavesPerEU: 9
; Occupancy: 16
; WaveLimiterHint : 0
; COMPUTE_PGM_RSRC2:SCRATCH_EN: 0
; COMPUTE_PGM_RSRC2:USER_SGPR: 14
; COMPUTE_PGM_RSRC2:TRAP_HANDLER: 0
; COMPUTE_PGM_RSRC2:TGID_X_EN: 1
; COMPUTE_PGM_RSRC2:TGID_Y_EN: 0
; COMPUTE_PGM_RSRC2:TGID_Z_EN: 1
; COMPUTE_PGM_RSRC2:TIDIG_COMP_CNT: 0
	.section	.text._ZL19rocblas_copy_kernelIiLi256EPKPKfPKPfEviT1_lT_lT2_lS8_li,"axG",@progbits,_ZL19rocblas_copy_kernelIiLi256EPKPKfPKPfEviT1_lT_lT2_lS8_li,comdat
	.globl	_ZL19rocblas_copy_kernelIiLi256EPKPKfPKPfEviT1_lT_lT2_lS8_li ; -- Begin function _ZL19rocblas_copy_kernelIiLi256EPKPKfPKPfEviT1_lT_lT2_lS8_li
	.p2align	8
	.type	_ZL19rocblas_copy_kernelIiLi256EPKPKfPKPfEviT1_lT_lT2_lS8_li,@function
_ZL19rocblas_copy_kernelIiLi256EPKPKfPKPfEviT1_lT_lT2_lS8_li: ; @_ZL19rocblas_copy_kernelIiLi256EPKPKfPKPfEviT1_lT_lT2_lS8_li
; %bb.0:
	s_load_b32 s4, s[0:1], 0x0
	v_lshl_or_b32 v0, s14, 8, v0
	v_mov_b32_e32 v1, 0
	s_mov_b32 s3, exec_lo
	s_waitcnt lgkmcnt(0)
	s_ashr_i32 s5, s4, 31
	s_delay_alu instid0(VALU_DEP_1) | instid1(SALU_CYCLE_1)
	v_cmpx_gt_i64_e64 s[4:5], v[0:1]
	s_cbranch_execz .LBB11_2
; %bb.1:
	s_clause 0x2
	s_load_b32 s10, s[0:1], 0x18
	s_load_b32 s11, s[0:1], 0x38
	s_load_b128 s[4:7], s[0:1], 0x28
	s_mov_b32 s2, s15
	s_mov_b32 s3, 0
	s_delay_alu instid0(SALU_CYCLE_1)
	s_lshl_b64 s[8:9], s[2:3], 3
	s_waitcnt lgkmcnt(0)
	s_ashr_i32 s12, s10, 31
	s_ashr_i32 s13, s11, 31
	s_add_u32 s2, s4, s8
	s_addc_u32 s3, s5, s9
	s_lshl_b64 s[6:7], s[6:7], 2
	s_load_b64 s[4:5], s[2:3], 0x0
	s_load_b128 s[0:3], s[0:1], 0x8
	v_mad_u64_u32 v[1:2], null, s10, v0, 0
	s_delay_alu instid0(VALU_DEP_1) | instskip(NEXT) | instid1(VALU_DEP_1)
	v_mad_u64_u32 v[3:4], null, s12, v0, v[2:3]
	v_mov_b32_e32 v2, v3
	s_waitcnt lgkmcnt(0)
	s_add_u32 s4, s4, s6
	s_addc_u32 s5, s5, s7
	s_add_u32 s0, s0, s8
	s_addc_u32 s1, s1, s9
	v_lshlrev_b64 v[1:2], 2, v[1:2]
	s_load_b64 s[0:1], s[0:1], 0x0
	s_lshl_b64 s[2:3], s[2:3], 2
	s_waitcnt lgkmcnt(0)
	s_add_u32 s0, s0, s2
	s_addc_u32 s1, s1, s3
	v_add_co_u32 v1, vcc_lo, s0, v1
	v_add_co_ci_u32_e32 v2, vcc_lo, s1, v2, vcc_lo
	global_load_b32 v5, v[1:2], off
	v_mad_u64_u32 v[1:2], null, s11, v0, 0
	s_delay_alu instid0(VALU_DEP_1) | instskip(NEXT) | instid1(VALU_DEP_1)
	v_mad_u64_u32 v[3:4], null, s13, v0, v[2:3]
	v_mov_b32_e32 v2, v3
	s_delay_alu instid0(VALU_DEP_1) | instskip(NEXT) | instid1(VALU_DEP_1)
	v_lshlrev_b64 v[0:1], 2, v[1:2]
	v_add_co_u32 v0, vcc_lo, s4, v0
	s_delay_alu instid0(VALU_DEP_2)
	v_add_co_ci_u32_e32 v1, vcc_lo, s5, v1, vcc_lo
	s_waitcnt vmcnt(0)
	global_store_b32 v[0:1], v5, off
.LBB11_2:
	s_nop 0
	s_sendmsg sendmsg(MSG_DEALLOC_VGPRS)
	s_endpgm
	.section	.rodata,"a",@progbits
	.p2align	6, 0x0
	.amdhsa_kernel _ZL19rocblas_copy_kernelIiLi256EPKPKfPKPfEviT1_lT_lT2_lS8_li
		.amdhsa_group_segment_fixed_size 0
		.amdhsa_private_segment_fixed_size 0
		.amdhsa_kernarg_size 76
		.amdhsa_user_sgpr_count 14
		.amdhsa_user_sgpr_dispatch_ptr 0
		.amdhsa_user_sgpr_queue_ptr 0
		.amdhsa_user_sgpr_kernarg_segment_ptr 1
		.amdhsa_user_sgpr_dispatch_id 0
		.amdhsa_user_sgpr_private_segment_size 0
		.amdhsa_wavefront_size32 1
		.amdhsa_uses_dynamic_stack 0
		.amdhsa_enable_private_segment 0
		.amdhsa_system_sgpr_workgroup_id_x 1
		.amdhsa_system_sgpr_workgroup_id_y 0
		.amdhsa_system_sgpr_workgroup_id_z 1
		.amdhsa_system_sgpr_workgroup_info 0
		.amdhsa_system_vgpr_workitem_id 0
		.amdhsa_next_free_vgpr 6
		.amdhsa_next_free_sgpr 16
		.amdhsa_reserve_vcc 1
		.amdhsa_float_round_mode_32 0
		.amdhsa_float_round_mode_16_64 0
		.amdhsa_float_denorm_mode_32 3
		.amdhsa_float_denorm_mode_16_64 3
		.amdhsa_dx10_clamp 1
		.amdhsa_ieee_mode 1
		.amdhsa_fp16_overflow 0
		.amdhsa_workgroup_processor_mode 1
		.amdhsa_memory_ordered 1
		.amdhsa_forward_progress 0
		.amdhsa_shared_vgpr_count 0
		.amdhsa_exception_fp_ieee_invalid_op 0
		.amdhsa_exception_fp_denorm_src 0
		.amdhsa_exception_fp_ieee_div_zero 0
		.amdhsa_exception_fp_ieee_overflow 0
		.amdhsa_exception_fp_ieee_underflow 0
		.amdhsa_exception_fp_ieee_inexact 0
		.amdhsa_exception_int_div_zero 0
	.end_amdhsa_kernel
	.section	.text._ZL19rocblas_copy_kernelIiLi256EPKPKfPKPfEviT1_lT_lT2_lS8_li,"axG",@progbits,_ZL19rocblas_copy_kernelIiLi256EPKPKfPKPfEviT1_lT_lT2_lS8_li,comdat
.Lfunc_end11:
	.size	_ZL19rocblas_copy_kernelIiLi256EPKPKfPKPfEviT1_lT_lT2_lS8_li, .Lfunc_end11-_ZL19rocblas_copy_kernelIiLi256EPKPKfPKPfEviT1_lT_lT2_lS8_li
                                        ; -- End function
	.section	.AMDGPU.csdata,"",@progbits
; Kernel info:
; codeLenInByte = 304
; NumSgprs: 18
; NumVgprs: 6
; ScratchSize: 0
; MemoryBound: 0
; FloatMode: 240
; IeeeMode: 1
; LDSByteSize: 0 bytes/workgroup (compile time only)
; SGPRBlocks: 2
; VGPRBlocks: 0
; NumSGPRsForWavesPerEU: 18
; NumVGPRsForWavesPerEU: 6
; Occupancy: 16
; WaveLimiterHint : 1
; COMPUTE_PGM_RSRC2:SCRATCH_EN: 0
; COMPUTE_PGM_RSRC2:USER_SGPR: 14
; COMPUTE_PGM_RSRC2:TRAP_HANDLER: 0
; COMPUTE_PGM_RSRC2:TGID_X_EN: 1
; COMPUTE_PGM_RSRC2:TGID_Y_EN: 0
; COMPUTE_PGM_RSRC2:TGID_Z_EN: 1
; COMPUTE_PGM_RSRC2:TIDIG_COMP_CNT: 0
	.section	.text._ZL22rocblas_scopy_2_kernelILi256EPKPKfPKPfEviT0_llT1_lli,"axG",@progbits,_ZL22rocblas_scopy_2_kernelILi256EPKPKfPKPfEviT0_llT1_lli,comdat
	.globl	_ZL22rocblas_scopy_2_kernelILi256EPKPKfPKPfEviT0_llT1_lli ; -- Begin function _ZL22rocblas_scopy_2_kernelILi256EPKPKfPKPfEviT0_llT1_lli
	.p2align	8
	.type	_ZL22rocblas_scopy_2_kernelILi256EPKPKfPKPfEviT0_llT1_lli,@function
_ZL22rocblas_scopy_2_kernelILi256EPKPKfPKPfEviT0_llT1_lli: ; @_ZL22rocblas_scopy_2_kernelILi256EPKPKfPKPfEviT0_llT1_lli
; %bb.0:
	s_load_b128 s[4:7], s[0:1], 0x8
	s_mov_b32 s2, s15
	s_mov_b32 s3, 0
	v_dual_mov_b32 v3, 0 :: v_dual_lshlrev_b32 v0, 1, v0
	s_lshl_b64 s[12:13], s[2:3], 3
	s_delay_alu instid0(VALU_DEP_1) | instskip(NEXT) | instid1(VALU_DEP_1)
	v_lshl_or_b32 v2, s14, 9, v0
	v_lshlrev_b64 v[0:1], 2, v[2:3]
	s_waitcnt lgkmcnt(0)
	s_add_u32 s2, s4, s12
	s_addc_u32 s3, s5, s13
	s_lshl_b64 s[4:5], s[6:7], 2
	s_load_b64 s[2:3], s[2:3], 0x0
	s_load_b128 s[8:11], s[0:1], 0x20
	s_mov_b32 s7, exec_lo
	s_waitcnt lgkmcnt(0)
	s_add_u32 s2, s2, s4
	s_addc_u32 s3, s3, s5
	s_add_u32 s4, s8, s12
	s_addc_u32 s5, s9, s13
	s_load_b64 s[4:5], s[4:5], 0x0
	s_load_b32 s6, s[0:1], 0x0
	s_lshl_b64 s[0:1], s[10:11], 2
	s_waitcnt lgkmcnt(0)
	s_add_u32 s4, s4, s0
	s_addc_u32 s5, s5, s1
	s_add_i32 s0, s6, -1
	s_delay_alu instid0(SALU_CYCLE_1) | instskip(NEXT) | instid1(SALU_CYCLE_1)
	s_ashr_i32 s1, s0, 31
	v_cmpx_gt_i64_e64 s[0:1], v[2:3]
	s_cbranch_execz .LBB12_2
; %bb.1:
	v_add_co_u32 v4, vcc_lo, s2, v0
	v_add_co_ci_u32_e32 v5, vcc_lo, s3, v1, vcc_lo
	v_add_co_u32 v6, vcc_lo, s4, v0
	v_add_co_ci_u32_e32 v7, vcc_lo, s5, v1, vcc_lo
	global_load_b32 v8, v[4:5], off
	s_waitcnt vmcnt(0)
	global_store_b32 v[6:7], v8, off
	global_load_b32 v4, v[4:5], off offset:4
	s_waitcnt vmcnt(0)
	global_store_b32 v[6:7], v4, off offset:4
.LBB12_2:
	s_or_b32 exec_lo, exec_lo, s7
	v_cmp_eq_u64_e32 vcc_lo, s[0:1], v[2:3]
	s_bitcmp1_b32 s6, 0
	s_cselect_b32 s0, -1, 0
	s_delay_alu instid0(SALU_CYCLE_1) | instskip(NEXT) | instid1(SALU_CYCLE_1)
	s_and_b32 s0, s0, vcc_lo
	s_and_saveexec_b32 s1, s0
	s_cbranch_execz .LBB12_4
; %bb.3:
	v_add_co_u32 v2, vcc_lo, s2, v0
	v_add_co_ci_u32_e32 v3, vcc_lo, s3, v1, vcc_lo
	v_add_co_u32 v0, vcc_lo, s4, v0
	v_add_co_ci_u32_e32 v1, vcc_lo, s5, v1, vcc_lo
	global_load_b32 v2, v[2:3], off
	s_waitcnt vmcnt(0)
	global_store_b32 v[0:1], v2, off
.LBB12_4:
	s_nop 0
	s_sendmsg sendmsg(MSG_DEALLOC_VGPRS)
	s_endpgm
	.section	.rodata,"a",@progbits
	.p2align	6, 0x0
	.amdhsa_kernel _ZL22rocblas_scopy_2_kernelILi256EPKPKfPKPfEviT0_llT1_lli
		.amdhsa_group_segment_fixed_size 0
		.amdhsa_private_segment_fixed_size 0
		.amdhsa_kernarg_size 60
		.amdhsa_user_sgpr_count 14
		.amdhsa_user_sgpr_dispatch_ptr 0
		.amdhsa_user_sgpr_queue_ptr 0
		.amdhsa_user_sgpr_kernarg_segment_ptr 1
		.amdhsa_user_sgpr_dispatch_id 0
		.amdhsa_user_sgpr_private_segment_size 0
		.amdhsa_wavefront_size32 1
		.amdhsa_uses_dynamic_stack 0
		.amdhsa_enable_private_segment 0
		.amdhsa_system_sgpr_workgroup_id_x 1
		.amdhsa_system_sgpr_workgroup_id_y 0
		.amdhsa_system_sgpr_workgroup_id_z 1
		.amdhsa_system_sgpr_workgroup_info 0
		.amdhsa_system_vgpr_workitem_id 0
		.amdhsa_next_free_vgpr 9
		.amdhsa_next_free_sgpr 16
		.amdhsa_reserve_vcc 1
		.amdhsa_float_round_mode_32 0
		.amdhsa_float_round_mode_16_64 0
		.amdhsa_float_denorm_mode_32 3
		.amdhsa_float_denorm_mode_16_64 3
		.amdhsa_dx10_clamp 1
		.amdhsa_ieee_mode 1
		.amdhsa_fp16_overflow 0
		.amdhsa_workgroup_processor_mode 1
		.amdhsa_memory_ordered 1
		.amdhsa_forward_progress 0
		.amdhsa_shared_vgpr_count 0
		.amdhsa_exception_fp_ieee_invalid_op 0
		.amdhsa_exception_fp_denorm_src 0
		.amdhsa_exception_fp_ieee_div_zero 0
		.amdhsa_exception_fp_ieee_overflow 0
		.amdhsa_exception_fp_ieee_underflow 0
		.amdhsa_exception_fp_ieee_inexact 0
		.amdhsa_exception_int_div_zero 0
	.end_amdhsa_kernel
	.section	.text._ZL22rocblas_scopy_2_kernelILi256EPKPKfPKPfEviT0_llT1_lli,"axG",@progbits,_ZL22rocblas_scopy_2_kernelILi256EPKPKfPKPfEviT0_llT1_lli,comdat
.Lfunc_end12:
	.size	_ZL22rocblas_scopy_2_kernelILi256EPKPKfPKPfEviT0_llT1_lli, .Lfunc_end12-_ZL22rocblas_scopy_2_kernelILi256EPKPKfPKPfEviT0_llT1_lli
                                        ; -- End function
	.section	.AMDGPU.csdata,"",@progbits
; Kernel info:
; codeLenInByte = 312
; NumSgprs: 18
; NumVgprs: 9
; ScratchSize: 0
; MemoryBound: 0
; FloatMode: 240
; IeeeMode: 1
; LDSByteSize: 0 bytes/workgroup (compile time only)
; SGPRBlocks: 2
; VGPRBlocks: 1
; NumSGPRsForWavesPerEU: 18
; NumVGPRsForWavesPerEU: 9
; Occupancy: 16
; WaveLimiterHint : 1
; COMPUTE_PGM_RSRC2:SCRATCH_EN: 0
; COMPUTE_PGM_RSRC2:USER_SGPR: 14
; COMPUTE_PGM_RSRC2:TRAP_HANDLER: 0
; COMPUTE_PGM_RSRC2:TGID_X_EN: 1
; COMPUTE_PGM_RSRC2:TGID_Y_EN: 0
; COMPUTE_PGM_RSRC2:TGID_Z_EN: 1
; COMPUTE_PGM_RSRC2:TIDIG_COMP_CNT: 0
	.section	.text._ZL19rocblas_copy_kernelIlLi256EPKPKfPKPfEviT1_lT_lT2_lS8_li,"axG",@progbits,_ZL19rocblas_copy_kernelIlLi256EPKPKfPKPfEviT1_lT_lT2_lS8_li,comdat
	.globl	_ZL19rocblas_copy_kernelIlLi256EPKPKfPKPfEviT1_lT_lT2_lS8_li ; -- Begin function _ZL19rocblas_copy_kernelIlLi256EPKPKfPKPfEviT1_lT_lT2_lS8_li
	.p2align	8
	.type	_ZL19rocblas_copy_kernelIlLi256EPKPKfPKPfEviT1_lT_lT2_lS8_li,@function
_ZL19rocblas_copy_kernelIlLi256EPKPKfPKPfEviT1_lT_lT2_lS8_li: ; @_ZL19rocblas_copy_kernelIlLi256EPKPKfPKPfEviT1_lT_lT2_lS8_li
; %bb.0:
	s_load_b32 s4, s[0:1], 0x0
	v_lshl_or_b32 v0, s14, 8, v0
	v_mov_b32_e32 v1, 0
	s_mov_b32 s3, exec_lo
	s_waitcnt lgkmcnt(0)
	s_ashr_i32 s5, s4, 31
	s_delay_alu instid0(VALU_DEP_1) | instid1(SALU_CYCLE_1)
	v_cmpx_gt_i64_e64 s[4:5], v[0:1]
	s_cbranch_execz .LBB13_2
; %bb.1:
	s_clause 0x1
	s_load_b128 s[4:7], s[0:1], 0x28
	s_load_b64 s[8:9], s[0:1], 0x18
	s_mov_b32 s2, s15
	s_mov_b32 s3, 0
	s_load_b64 s[12:13], s[0:1], 0x38
	s_lshl_b64 s[10:11], s[2:3], 3
	s_waitcnt lgkmcnt(0)
	s_add_u32 s2, s4, s10
	s_addc_u32 s3, s5, s11
	s_lshl_b64 s[6:7], s[6:7], 2
	s_load_b64 s[4:5], s[2:3], 0x0
	s_load_b128 s[0:3], s[0:1], 0x8
	v_mad_u64_u32 v[1:2], null, v0, s8, 0
	s_delay_alu instid0(VALU_DEP_1) | instskip(NEXT) | instid1(VALU_DEP_1)
	v_mad_u64_u32 v[3:4], null, v0, s9, v[2:3]
	v_mov_b32_e32 v2, v3
	s_waitcnt lgkmcnt(0)
	s_add_u32 s4, s4, s6
	s_addc_u32 s5, s5, s7
	s_add_u32 s0, s0, s10
	s_addc_u32 s1, s1, s11
	v_lshlrev_b64 v[1:2], 2, v[1:2]
	s_load_b64 s[0:1], s[0:1], 0x0
	s_lshl_b64 s[2:3], s[2:3], 2
	s_waitcnt lgkmcnt(0)
	s_add_u32 s0, s0, s2
	s_addc_u32 s1, s1, s3
	v_add_co_u32 v1, vcc_lo, s0, v1
	v_add_co_ci_u32_e32 v2, vcc_lo, s1, v2, vcc_lo
	global_load_b32 v5, v[1:2], off
	v_mad_u64_u32 v[1:2], null, v0, s12, 0
	s_delay_alu instid0(VALU_DEP_1) | instskip(NEXT) | instid1(VALU_DEP_1)
	v_mad_u64_u32 v[3:4], null, v0, s13, v[2:3]
	v_mov_b32_e32 v2, v3
	s_delay_alu instid0(VALU_DEP_1) | instskip(NEXT) | instid1(VALU_DEP_1)
	v_lshlrev_b64 v[0:1], 2, v[1:2]
	v_add_co_u32 v0, vcc_lo, s4, v0
	s_delay_alu instid0(VALU_DEP_2)
	v_add_co_ci_u32_e32 v1, vcc_lo, s5, v1, vcc_lo
	s_waitcnt vmcnt(0)
	global_store_b32 v[0:1], v5, off
.LBB13_2:
	s_nop 0
	s_sendmsg sendmsg(MSG_DEALLOC_VGPRS)
	s_endpgm
	.section	.rodata,"a",@progbits
	.p2align	6, 0x0
	.amdhsa_kernel _ZL19rocblas_copy_kernelIlLi256EPKPKfPKPfEviT1_lT_lT2_lS8_li
		.amdhsa_group_segment_fixed_size 0
		.amdhsa_private_segment_fixed_size 0
		.amdhsa_kernarg_size 76
		.amdhsa_user_sgpr_count 14
		.amdhsa_user_sgpr_dispatch_ptr 0
		.amdhsa_user_sgpr_queue_ptr 0
		.amdhsa_user_sgpr_kernarg_segment_ptr 1
		.amdhsa_user_sgpr_dispatch_id 0
		.amdhsa_user_sgpr_private_segment_size 0
		.amdhsa_wavefront_size32 1
		.amdhsa_uses_dynamic_stack 0
		.amdhsa_enable_private_segment 0
		.amdhsa_system_sgpr_workgroup_id_x 1
		.amdhsa_system_sgpr_workgroup_id_y 0
		.amdhsa_system_sgpr_workgroup_id_z 1
		.amdhsa_system_sgpr_workgroup_info 0
		.amdhsa_system_vgpr_workitem_id 0
		.amdhsa_next_free_vgpr 6
		.amdhsa_next_free_sgpr 16
		.amdhsa_reserve_vcc 1
		.amdhsa_float_round_mode_32 0
		.amdhsa_float_round_mode_16_64 0
		.amdhsa_float_denorm_mode_32 3
		.amdhsa_float_denorm_mode_16_64 3
		.amdhsa_dx10_clamp 1
		.amdhsa_ieee_mode 1
		.amdhsa_fp16_overflow 0
		.amdhsa_workgroup_processor_mode 1
		.amdhsa_memory_ordered 1
		.amdhsa_forward_progress 0
		.amdhsa_shared_vgpr_count 0
		.amdhsa_exception_fp_ieee_invalid_op 0
		.amdhsa_exception_fp_denorm_src 0
		.amdhsa_exception_fp_ieee_div_zero 0
		.amdhsa_exception_fp_ieee_overflow 0
		.amdhsa_exception_fp_ieee_underflow 0
		.amdhsa_exception_fp_ieee_inexact 0
		.amdhsa_exception_int_div_zero 0
	.end_amdhsa_kernel
	.section	.text._ZL19rocblas_copy_kernelIlLi256EPKPKfPKPfEviT1_lT_lT2_lS8_li,"axG",@progbits,_ZL19rocblas_copy_kernelIlLi256EPKPKfPKPfEviT1_lT_lT2_lS8_li,comdat
.Lfunc_end13:
	.size	_ZL19rocblas_copy_kernelIlLi256EPKPKfPKPfEviT1_lT_lT2_lS8_li, .Lfunc_end13-_ZL19rocblas_copy_kernelIlLi256EPKPKfPKPfEviT1_lT_lT2_lS8_li
                                        ; -- End function
	.section	.AMDGPU.csdata,"",@progbits
; Kernel info:
; codeLenInByte = 292
; NumSgprs: 18
; NumVgprs: 6
; ScratchSize: 0
; MemoryBound: 0
; FloatMode: 240
; IeeeMode: 1
; LDSByteSize: 0 bytes/workgroup (compile time only)
; SGPRBlocks: 2
; VGPRBlocks: 0
; NumSGPRsForWavesPerEU: 18
; NumVGPRsForWavesPerEU: 6
; Occupancy: 16
; WaveLimiterHint : 1
; COMPUTE_PGM_RSRC2:SCRATCH_EN: 0
; COMPUTE_PGM_RSRC2:USER_SGPR: 14
; COMPUTE_PGM_RSRC2:TRAP_HANDLER: 0
; COMPUTE_PGM_RSRC2:TGID_X_EN: 1
; COMPUTE_PGM_RSRC2:TGID_Y_EN: 0
; COMPUTE_PGM_RSRC2:TGID_Z_EN: 1
; COMPUTE_PGM_RSRC2:TIDIG_COMP_CNT: 0
	.section	.text._ZL19rocblas_copy_kernelIiLi256EPKPKdPKPdEviT1_lT_lT2_lS8_li,"axG",@progbits,_ZL19rocblas_copy_kernelIiLi256EPKPKdPKPdEviT1_lT_lT2_lS8_li,comdat
	.globl	_ZL19rocblas_copy_kernelIiLi256EPKPKdPKPdEviT1_lT_lT2_lS8_li ; -- Begin function _ZL19rocblas_copy_kernelIiLi256EPKPKdPKPdEviT1_lT_lT2_lS8_li
	.p2align	8
	.type	_ZL19rocblas_copy_kernelIiLi256EPKPKdPKPdEviT1_lT_lT2_lS8_li,@function
_ZL19rocblas_copy_kernelIiLi256EPKPKdPKPdEviT1_lT_lT2_lS8_li: ; @_ZL19rocblas_copy_kernelIiLi256EPKPKdPKPdEviT1_lT_lT2_lS8_li
; %bb.0:
	s_load_b32 s4, s[0:1], 0x0
	v_lshl_or_b32 v0, s14, 8, v0
	v_mov_b32_e32 v1, 0
	s_mov_b32 s3, exec_lo
	s_waitcnt lgkmcnt(0)
	s_ashr_i32 s5, s4, 31
	s_delay_alu instid0(VALU_DEP_1) | instid1(SALU_CYCLE_1)
	v_cmpx_gt_i64_e64 s[4:5], v[0:1]
	s_cbranch_execz .LBB14_2
; %bb.1:
	s_clause 0x2
	s_load_b32 s10, s[0:1], 0x18
	s_load_b32 s11, s[0:1], 0x38
	s_load_b128 s[4:7], s[0:1], 0x28
	s_mov_b32 s2, s15
	s_mov_b32 s3, 0
	s_delay_alu instid0(SALU_CYCLE_1)
	s_lshl_b64 s[8:9], s[2:3], 3
	s_waitcnt lgkmcnt(0)
	s_ashr_i32 s12, s10, 31
	s_ashr_i32 s13, s11, 31
	s_add_u32 s2, s4, s8
	s_addc_u32 s3, s5, s9
	s_lshl_b64 s[6:7], s[6:7], 3
	s_load_b64 s[4:5], s[2:3], 0x0
	s_load_b128 s[0:3], s[0:1], 0x8
	v_mad_u64_u32 v[1:2], null, s10, v0, 0
	s_delay_alu instid0(VALU_DEP_1) | instskip(NEXT) | instid1(VALU_DEP_1)
	v_mad_u64_u32 v[3:4], null, s12, v0, v[2:3]
	v_mov_b32_e32 v2, v3
	v_mad_u64_u32 v[3:4], null, s11, v0, 0
	s_waitcnt lgkmcnt(0)
	s_add_u32 s4, s4, s6
	s_addc_u32 s5, s5, s7
	s_add_u32 s0, s0, s8
	s_addc_u32 s1, s1, s9
	v_lshlrev_b64 v[1:2], 3, v[1:2]
	s_load_b64 s[0:1], s[0:1], 0x0
	s_lshl_b64 s[2:3], s[2:3], 3
	v_mad_u64_u32 v[5:6], null, s13, v0, v[4:5]
	s_delay_alu instid0(VALU_DEP_1) | instskip(NEXT) | instid1(VALU_DEP_1)
	v_mov_b32_e32 v4, v5
	v_lshlrev_b64 v[3:4], 3, v[3:4]
	s_waitcnt lgkmcnt(0)
	s_add_u32 s0, s0, s2
	s_addc_u32 s1, s1, s3
	v_add_co_u32 v1, vcc_lo, s0, v1
	v_add_co_ci_u32_e32 v2, vcc_lo, s1, v2, vcc_lo
	v_add_co_u32 v3, vcc_lo, s4, v3
	v_add_co_ci_u32_e32 v4, vcc_lo, s5, v4, vcc_lo
	global_load_b64 v[1:2], v[1:2], off
	s_waitcnt vmcnt(0)
	global_store_b64 v[3:4], v[1:2], off
.LBB14_2:
	s_nop 0
	s_sendmsg sendmsg(MSG_DEALLOC_VGPRS)
	s_endpgm
	.section	.rodata,"a",@progbits
	.p2align	6, 0x0
	.amdhsa_kernel _ZL19rocblas_copy_kernelIiLi256EPKPKdPKPdEviT1_lT_lT2_lS8_li
		.amdhsa_group_segment_fixed_size 0
		.amdhsa_private_segment_fixed_size 0
		.amdhsa_kernarg_size 76
		.amdhsa_user_sgpr_count 14
		.amdhsa_user_sgpr_dispatch_ptr 0
		.amdhsa_user_sgpr_queue_ptr 0
		.amdhsa_user_sgpr_kernarg_segment_ptr 1
		.amdhsa_user_sgpr_dispatch_id 0
		.amdhsa_user_sgpr_private_segment_size 0
		.amdhsa_wavefront_size32 1
		.amdhsa_uses_dynamic_stack 0
		.amdhsa_enable_private_segment 0
		.amdhsa_system_sgpr_workgroup_id_x 1
		.amdhsa_system_sgpr_workgroup_id_y 0
		.amdhsa_system_sgpr_workgroup_id_z 1
		.amdhsa_system_sgpr_workgroup_info 0
		.amdhsa_system_vgpr_workitem_id 0
		.amdhsa_next_free_vgpr 7
		.amdhsa_next_free_sgpr 16
		.amdhsa_reserve_vcc 1
		.amdhsa_float_round_mode_32 0
		.amdhsa_float_round_mode_16_64 0
		.amdhsa_float_denorm_mode_32 3
		.amdhsa_float_denorm_mode_16_64 3
		.amdhsa_dx10_clamp 1
		.amdhsa_ieee_mode 1
		.amdhsa_fp16_overflow 0
		.amdhsa_workgroup_processor_mode 1
		.amdhsa_memory_ordered 1
		.amdhsa_forward_progress 0
		.amdhsa_shared_vgpr_count 0
		.amdhsa_exception_fp_ieee_invalid_op 0
		.amdhsa_exception_fp_denorm_src 0
		.amdhsa_exception_fp_ieee_div_zero 0
		.amdhsa_exception_fp_ieee_overflow 0
		.amdhsa_exception_fp_ieee_underflow 0
		.amdhsa_exception_fp_ieee_inexact 0
		.amdhsa_exception_int_div_zero 0
	.end_amdhsa_kernel
	.section	.text._ZL19rocblas_copy_kernelIiLi256EPKPKdPKPdEviT1_lT_lT2_lS8_li,"axG",@progbits,_ZL19rocblas_copy_kernelIiLi256EPKPKdPKPdEviT1_lT_lT2_lS8_li,comdat
.Lfunc_end14:
	.size	_ZL19rocblas_copy_kernelIiLi256EPKPKdPKPdEviT1_lT_lT2_lS8_li, .Lfunc_end14-_ZL19rocblas_copy_kernelIiLi256EPKPKdPKPdEviT1_lT_lT2_lS8_li
                                        ; -- End function
	.section	.AMDGPU.csdata,"",@progbits
; Kernel info:
; codeLenInByte = 296
; NumSgprs: 18
; NumVgprs: 7
; ScratchSize: 0
; MemoryBound: 0
; FloatMode: 240
; IeeeMode: 1
; LDSByteSize: 0 bytes/workgroup (compile time only)
; SGPRBlocks: 2
; VGPRBlocks: 0
; NumSGPRsForWavesPerEU: 18
; NumVGPRsForWavesPerEU: 7
; Occupancy: 16
; WaveLimiterHint : 1
; COMPUTE_PGM_RSRC2:SCRATCH_EN: 0
; COMPUTE_PGM_RSRC2:USER_SGPR: 14
; COMPUTE_PGM_RSRC2:TRAP_HANDLER: 0
; COMPUTE_PGM_RSRC2:TGID_X_EN: 1
; COMPUTE_PGM_RSRC2:TGID_Y_EN: 0
; COMPUTE_PGM_RSRC2:TGID_Z_EN: 1
; COMPUTE_PGM_RSRC2:TIDIG_COMP_CNT: 0
	.section	.text._ZL19rocblas_copy_kernelIlLi256EPKPKdPKPdEviT1_lT_lT2_lS8_li,"axG",@progbits,_ZL19rocblas_copy_kernelIlLi256EPKPKdPKPdEviT1_lT_lT2_lS8_li,comdat
	.globl	_ZL19rocblas_copy_kernelIlLi256EPKPKdPKPdEviT1_lT_lT2_lS8_li ; -- Begin function _ZL19rocblas_copy_kernelIlLi256EPKPKdPKPdEviT1_lT_lT2_lS8_li
	.p2align	8
	.type	_ZL19rocblas_copy_kernelIlLi256EPKPKdPKPdEviT1_lT_lT2_lS8_li,@function
_ZL19rocblas_copy_kernelIlLi256EPKPKdPKPdEviT1_lT_lT2_lS8_li: ; @_ZL19rocblas_copy_kernelIlLi256EPKPKdPKPdEviT1_lT_lT2_lS8_li
; %bb.0:
	s_load_b32 s4, s[0:1], 0x0
	v_lshl_or_b32 v0, s14, 8, v0
	v_mov_b32_e32 v1, 0
	s_mov_b32 s3, exec_lo
	s_waitcnt lgkmcnt(0)
	s_ashr_i32 s5, s4, 31
	s_delay_alu instid0(VALU_DEP_1) | instid1(SALU_CYCLE_1)
	v_cmpx_gt_i64_e64 s[4:5], v[0:1]
	s_cbranch_execz .LBB15_2
; %bb.1:
	s_clause 0x1
	s_load_b128 s[4:7], s[0:1], 0x28
	s_load_b64 s[8:9], s[0:1], 0x18
	s_mov_b32 s2, s15
	s_mov_b32 s3, 0
	s_load_b64 s[12:13], s[0:1], 0x38
	s_lshl_b64 s[10:11], s[2:3], 3
	s_waitcnt lgkmcnt(0)
	s_add_u32 s2, s4, s10
	s_addc_u32 s3, s5, s11
	s_lshl_b64 s[6:7], s[6:7], 3
	s_load_b64 s[4:5], s[2:3], 0x0
	s_load_b128 s[0:3], s[0:1], 0x8
	v_mad_u64_u32 v[1:2], null, v0, s8, 0
	s_delay_alu instid0(VALU_DEP_1) | instskip(NEXT) | instid1(VALU_DEP_1)
	v_mad_u64_u32 v[3:4], null, v0, s9, v[2:3]
	v_mov_b32_e32 v2, v3
	v_mad_u64_u32 v[3:4], null, v0, s12, 0
	s_waitcnt lgkmcnt(0)
	s_add_u32 s4, s4, s6
	s_addc_u32 s5, s5, s7
	s_add_u32 s0, s0, s10
	s_addc_u32 s1, s1, s11
	v_lshlrev_b64 v[1:2], 3, v[1:2]
	s_load_b64 s[0:1], s[0:1], 0x0
	s_lshl_b64 s[2:3], s[2:3], 3
	v_mad_u64_u32 v[5:6], null, v0, s13, v[4:5]
	s_delay_alu instid0(VALU_DEP_1) | instskip(NEXT) | instid1(VALU_DEP_1)
	v_mov_b32_e32 v4, v5
	v_lshlrev_b64 v[3:4], 3, v[3:4]
	s_waitcnt lgkmcnt(0)
	s_add_u32 s0, s0, s2
	s_addc_u32 s1, s1, s3
	v_add_co_u32 v1, vcc_lo, s0, v1
	v_add_co_ci_u32_e32 v2, vcc_lo, s1, v2, vcc_lo
	v_add_co_u32 v3, vcc_lo, s4, v3
	v_add_co_ci_u32_e32 v4, vcc_lo, s5, v4, vcc_lo
	global_load_b64 v[1:2], v[1:2], off
	s_waitcnt vmcnt(0)
	global_store_b64 v[3:4], v[1:2], off
.LBB15_2:
	s_nop 0
	s_sendmsg sendmsg(MSG_DEALLOC_VGPRS)
	s_endpgm
	.section	.rodata,"a",@progbits
	.p2align	6, 0x0
	.amdhsa_kernel _ZL19rocblas_copy_kernelIlLi256EPKPKdPKPdEviT1_lT_lT2_lS8_li
		.amdhsa_group_segment_fixed_size 0
		.amdhsa_private_segment_fixed_size 0
		.amdhsa_kernarg_size 76
		.amdhsa_user_sgpr_count 14
		.amdhsa_user_sgpr_dispatch_ptr 0
		.amdhsa_user_sgpr_queue_ptr 0
		.amdhsa_user_sgpr_kernarg_segment_ptr 1
		.amdhsa_user_sgpr_dispatch_id 0
		.amdhsa_user_sgpr_private_segment_size 0
		.amdhsa_wavefront_size32 1
		.amdhsa_uses_dynamic_stack 0
		.amdhsa_enable_private_segment 0
		.amdhsa_system_sgpr_workgroup_id_x 1
		.amdhsa_system_sgpr_workgroup_id_y 0
		.amdhsa_system_sgpr_workgroup_id_z 1
		.amdhsa_system_sgpr_workgroup_info 0
		.amdhsa_system_vgpr_workitem_id 0
		.amdhsa_next_free_vgpr 7
		.amdhsa_next_free_sgpr 16
		.amdhsa_reserve_vcc 1
		.amdhsa_float_round_mode_32 0
		.amdhsa_float_round_mode_16_64 0
		.amdhsa_float_denorm_mode_32 3
		.amdhsa_float_denorm_mode_16_64 3
		.amdhsa_dx10_clamp 1
		.amdhsa_ieee_mode 1
		.amdhsa_fp16_overflow 0
		.amdhsa_workgroup_processor_mode 1
		.amdhsa_memory_ordered 1
		.amdhsa_forward_progress 0
		.amdhsa_shared_vgpr_count 0
		.amdhsa_exception_fp_ieee_invalid_op 0
		.amdhsa_exception_fp_denorm_src 0
		.amdhsa_exception_fp_ieee_div_zero 0
		.amdhsa_exception_fp_ieee_overflow 0
		.amdhsa_exception_fp_ieee_underflow 0
		.amdhsa_exception_fp_ieee_inexact 0
		.amdhsa_exception_int_div_zero 0
	.end_amdhsa_kernel
	.section	.text._ZL19rocblas_copy_kernelIlLi256EPKPKdPKPdEviT1_lT_lT2_lS8_li,"axG",@progbits,_ZL19rocblas_copy_kernelIlLi256EPKPKdPKPdEviT1_lT_lT2_lS8_li,comdat
.Lfunc_end15:
	.size	_ZL19rocblas_copy_kernelIlLi256EPKPKdPKPdEviT1_lT_lT2_lS8_li, .Lfunc_end15-_ZL19rocblas_copy_kernelIlLi256EPKPKdPKPdEviT1_lT_lT2_lS8_li
                                        ; -- End function
	.section	.AMDGPU.csdata,"",@progbits
; Kernel info:
; codeLenInByte = 284
; NumSgprs: 18
; NumVgprs: 7
; ScratchSize: 0
; MemoryBound: 0
; FloatMode: 240
; IeeeMode: 1
; LDSByteSize: 0 bytes/workgroup (compile time only)
; SGPRBlocks: 2
; VGPRBlocks: 0
; NumSGPRsForWavesPerEU: 18
; NumVGPRsForWavesPerEU: 7
; Occupancy: 16
; WaveLimiterHint : 1
; COMPUTE_PGM_RSRC2:SCRATCH_EN: 0
; COMPUTE_PGM_RSRC2:USER_SGPR: 14
; COMPUTE_PGM_RSRC2:TRAP_HANDLER: 0
; COMPUTE_PGM_RSRC2:TGID_X_EN: 1
; COMPUTE_PGM_RSRC2:TGID_Y_EN: 0
; COMPUTE_PGM_RSRC2:TGID_Z_EN: 1
; COMPUTE_PGM_RSRC2:TIDIG_COMP_CNT: 0
	.section	.text._ZL19rocblas_copy_kernelIiLi256EPKPKDF16_PKPDF16_EviT1_lT_lT2_lS8_li,"axG",@progbits,_ZL19rocblas_copy_kernelIiLi256EPKPKDF16_PKPDF16_EviT1_lT_lT2_lS8_li,comdat
	.globl	_ZL19rocblas_copy_kernelIiLi256EPKPKDF16_PKPDF16_EviT1_lT_lT2_lS8_li ; -- Begin function _ZL19rocblas_copy_kernelIiLi256EPKPKDF16_PKPDF16_EviT1_lT_lT2_lS8_li
	.p2align	8
	.type	_ZL19rocblas_copy_kernelIiLi256EPKPKDF16_PKPDF16_EviT1_lT_lT2_lS8_li,@function
_ZL19rocblas_copy_kernelIiLi256EPKPKDF16_PKPDF16_EviT1_lT_lT2_lS8_li: ; @_ZL19rocblas_copy_kernelIiLi256EPKPKDF16_PKPDF16_EviT1_lT_lT2_lS8_li
; %bb.0:
	s_load_b32 s4, s[0:1], 0x0
	v_lshl_or_b32 v0, s14, 8, v0
	v_mov_b32_e32 v1, 0
	s_mov_b32 s3, exec_lo
	s_waitcnt lgkmcnt(0)
	s_ashr_i32 s5, s4, 31
	s_delay_alu instid0(VALU_DEP_1) | instid1(SALU_CYCLE_1)
	v_cmpx_gt_i64_e64 s[4:5], v[0:1]
	s_cbranch_execz .LBB16_2
; %bb.1:
	s_clause 0x2
	s_load_b32 s10, s[0:1], 0x18
	s_load_b32 s11, s[0:1], 0x38
	s_load_b128 s[4:7], s[0:1], 0x28
	s_mov_b32 s2, s15
	s_mov_b32 s3, 0
	s_delay_alu instid0(SALU_CYCLE_1)
	s_lshl_b64 s[8:9], s[2:3], 3
	s_waitcnt lgkmcnt(0)
	s_ashr_i32 s12, s10, 31
	s_ashr_i32 s13, s11, 31
	s_add_u32 s2, s4, s8
	s_addc_u32 s3, s5, s9
	s_lshl_b64 s[6:7], s[6:7], 1
	s_load_b64 s[4:5], s[2:3], 0x0
	s_load_b128 s[0:3], s[0:1], 0x8
	v_mad_u64_u32 v[1:2], null, s10, v0, 0
	s_delay_alu instid0(VALU_DEP_1) | instskip(NEXT) | instid1(VALU_DEP_1)
	v_mad_u64_u32 v[3:4], null, s12, v0, v[2:3]
	v_mov_b32_e32 v2, v3
	s_waitcnt lgkmcnt(0)
	s_add_u32 s4, s4, s6
	s_addc_u32 s5, s5, s7
	s_add_u32 s0, s0, s8
	s_addc_u32 s1, s1, s9
	v_lshlrev_b64 v[1:2], 1, v[1:2]
	s_load_b64 s[0:1], s[0:1], 0x0
	s_lshl_b64 s[2:3], s[2:3], 1
	s_waitcnt lgkmcnt(0)
	s_add_u32 s0, s0, s2
	s_addc_u32 s1, s1, s3
	v_add_co_u32 v1, vcc_lo, s0, v1
	v_add_co_ci_u32_e32 v2, vcc_lo, s1, v2, vcc_lo
	global_load_u16 v5, v[1:2], off
	v_mad_u64_u32 v[1:2], null, s11, v0, 0
	s_delay_alu instid0(VALU_DEP_1) | instskip(NEXT) | instid1(VALU_DEP_1)
	v_mad_u64_u32 v[3:4], null, s13, v0, v[2:3]
	v_mov_b32_e32 v2, v3
	s_delay_alu instid0(VALU_DEP_1) | instskip(NEXT) | instid1(VALU_DEP_1)
	v_lshlrev_b64 v[0:1], 1, v[1:2]
	v_add_co_u32 v0, vcc_lo, s4, v0
	s_delay_alu instid0(VALU_DEP_2)
	v_add_co_ci_u32_e32 v1, vcc_lo, s5, v1, vcc_lo
	s_waitcnt vmcnt(0)
	global_store_b16 v[0:1], v5, off
.LBB16_2:
	s_nop 0
	s_sendmsg sendmsg(MSG_DEALLOC_VGPRS)
	s_endpgm
	.section	.rodata,"a",@progbits
	.p2align	6, 0x0
	.amdhsa_kernel _ZL19rocblas_copy_kernelIiLi256EPKPKDF16_PKPDF16_EviT1_lT_lT2_lS8_li
		.amdhsa_group_segment_fixed_size 0
		.amdhsa_private_segment_fixed_size 0
		.amdhsa_kernarg_size 76
		.amdhsa_user_sgpr_count 14
		.amdhsa_user_sgpr_dispatch_ptr 0
		.amdhsa_user_sgpr_queue_ptr 0
		.amdhsa_user_sgpr_kernarg_segment_ptr 1
		.amdhsa_user_sgpr_dispatch_id 0
		.amdhsa_user_sgpr_private_segment_size 0
		.amdhsa_wavefront_size32 1
		.amdhsa_uses_dynamic_stack 0
		.amdhsa_enable_private_segment 0
		.amdhsa_system_sgpr_workgroup_id_x 1
		.amdhsa_system_sgpr_workgroup_id_y 0
		.amdhsa_system_sgpr_workgroup_id_z 1
		.amdhsa_system_sgpr_workgroup_info 0
		.amdhsa_system_vgpr_workitem_id 0
		.amdhsa_next_free_vgpr 6
		.amdhsa_next_free_sgpr 16
		.amdhsa_reserve_vcc 1
		.amdhsa_float_round_mode_32 0
		.amdhsa_float_round_mode_16_64 0
		.amdhsa_float_denorm_mode_32 3
		.amdhsa_float_denorm_mode_16_64 3
		.amdhsa_dx10_clamp 1
		.amdhsa_ieee_mode 1
		.amdhsa_fp16_overflow 0
		.amdhsa_workgroup_processor_mode 1
		.amdhsa_memory_ordered 1
		.amdhsa_forward_progress 0
		.amdhsa_shared_vgpr_count 0
		.amdhsa_exception_fp_ieee_invalid_op 0
		.amdhsa_exception_fp_denorm_src 0
		.amdhsa_exception_fp_ieee_div_zero 0
		.amdhsa_exception_fp_ieee_overflow 0
		.amdhsa_exception_fp_ieee_underflow 0
		.amdhsa_exception_fp_ieee_inexact 0
		.amdhsa_exception_int_div_zero 0
	.end_amdhsa_kernel
	.section	.text._ZL19rocblas_copy_kernelIiLi256EPKPKDF16_PKPDF16_EviT1_lT_lT2_lS8_li,"axG",@progbits,_ZL19rocblas_copy_kernelIiLi256EPKPKDF16_PKPDF16_EviT1_lT_lT2_lS8_li,comdat
.Lfunc_end16:
	.size	_ZL19rocblas_copy_kernelIiLi256EPKPKDF16_PKPDF16_EviT1_lT_lT2_lS8_li, .Lfunc_end16-_ZL19rocblas_copy_kernelIiLi256EPKPKDF16_PKPDF16_EviT1_lT_lT2_lS8_li
                                        ; -- End function
	.section	.AMDGPU.csdata,"",@progbits
; Kernel info:
; codeLenInByte = 304
; NumSgprs: 18
; NumVgprs: 6
; ScratchSize: 0
; MemoryBound: 0
; FloatMode: 240
; IeeeMode: 1
; LDSByteSize: 0 bytes/workgroup (compile time only)
; SGPRBlocks: 2
; VGPRBlocks: 0
; NumSGPRsForWavesPerEU: 18
; NumVGPRsForWavesPerEU: 6
; Occupancy: 16
; WaveLimiterHint : 1
; COMPUTE_PGM_RSRC2:SCRATCH_EN: 0
; COMPUTE_PGM_RSRC2:USER_SGPR: 14
; COMPUTE_PGM_RSRC2:TRAP_HANDLER: 0
; COMPUTE_PGM_RSRC2:TGID_X_EN: 1
; COMPUTE_PGM_RSRC2:TGID_Y_EN: 0
; COMPUTE_PGM_RSRC2:TGID_Z_EN: 1
; COMPUTE_PGM_RSRC2:TIDIG_COMP_CNT: 0
	.section	.text._ZL19rocblas_copy_kernelIlLi256EPKPKDF16_PKPDF16_EviT1_lT_lT2_lS8_li,"axG",@progbits,_ZL19rocblas_copy_kernelIlLi256EPKPKDF16_PKPDF16_EviT1_lT_lT2_lS8_li,comdat
	.globl	_ZL19rocblas_copy_kernelIlLi256EPKPKDF16_PKPDF16_EviT1_lT_lT2_lS8_li ; -- Begin function _ZL19rocblas_copy_kernelIlLi256EPKPKDF16_PKPDF16_EviT1_lT_lT2_lS8_li
	.p2align	8
	.type	_ZL19rocblas_copy_kernelIlLi256EPKPKDF16_PKPDF16_EviT1_lT_lT2_lS8_li,@function
_ZL19rocblas_copy_kernelIlLi256EPKPKDF16_PKPDF16_EviT1_lT_lT2_lS8_li: ; @_ZL19rocblas_copy_kernelIlLi256EPKPKDF16_PKPDF16_EviT1_lT_lT2_lS8_li
; %bb.0:
	s_load_b32 s4, s[0:1], 0x0
	v_lshl_or_b32 v0, s14, 8, v0
	v_mov_b32_e32 v1, 0
	s_mov_b32 s3, exec_lo
	s_waitcnt lgkmcnt(0)
	s_ashr_i32 s5, s4, 31
	s_delay_alu instid0(VALU_DEP_1) | instid1(SALU_CYCLE_1)
	v_cmpx_gt_i64_e64 s[4:5], v[0:1]
	s_cbranch_execz .LBB17_2
; %bb.1:
	s_clause 0x1
	s_load_b128 s[4:7], s[0:1], 0x28
	s_load_b64 s[8:9], s[0:1], 0x18
	s_mov_b32 s2, s15
	s_mov_b32 s3, 0
	s_load_b64 s[12:13], s[0:1], 0x38
	s_lshl_b64 s[10:11], s[2:3], 3
	s_waitcnt lgkmcnt(0)
	s_add_u32 s2, s4, s10
	s_addc_u32 s3, s5, s11
	s_lshl_b64 s[6:7], s[6:7], 1
	s_load_b64 s[4:5], s[2:3], 0x0
	s_load_b128 s[0:3], s[0:1], 0x8
	v_mad_u64_u32 v[1:2], null, v0, s8, 0
	s_delay_alu instid0(VALU_DEP_1) | instskip(NEXT) | instid1(VALU_DEP_1)
	v_mad_u64_u32 v[3:4], null, v0, s9, v[2:3]
	v_mov_b32_e32 v2, v3
	s_waitcnt lgkmcnt(0)
	s_add_u32 s4, s4, s6
	s_addc_u32 s5, s5, s7
	s_add_u32 s0, s0, s10
	s_addc_u32 s1, s1, s11
	v_lshlrev_b64 v[1:2], 1, v[1:2]
	s_load_b64 s[0:1], s[0:1], 0x0
	s_lshl_b64 s[2:3], s[2:3], 1
	s_waitcnt lgkmcnt(0)
	s_add_u32 s0, s0, s2
	s_addc_u32 s1, s1, s3
	v_add_co_u32 v1, vcc_lo, s0, v1
	v_add_co_ci_u32_e32 v2, vcc_lo, s1, v2, vcc_lo
	global_load_u16 v5, v[1:2], off
	v_mad_u64_u32 v[1:2], null, v0, s12, 0
	s_delay_alu instid0(VALU_DEP_1) | instskip(NEXT) | instid1(VALU_DEP_1)
	v_mad_u64_u32 v[3:4], null, v0, s13, v[2:3]
	v_mov_b32_e32 v2, v3
	s_delay_alu instid0(VALU_DEP_1) | instskip(NEXT) | instid1(VALU_DEP_1)
	v_lshlrev_b64 v[0:1], 1, v[1:2]
	v_add_co_u32 v0, vcc_lo, s4, v0
	s_delay_alu instid0(VALU_DEP_2)
	v_add_co_ci_u32_e32 v1, vcc_lo, s5, v1, vcc_lo
	s_waitcnt vmcnt(0)
	global_store_b16 v[0:1], v5, off
.LBB17_2:
	s_nop 0
	s_sendmsg sendmsg(MSG_DEALLOC_VGPRS)
	s_endpgm
	.section	.rodata,"a",@progbits
	.p2align	6, 0x0
	.amdhsa_kernel _ZL19rocblas_copy_kernelIlLi256EPKPKDF16_PKPDF16_EviT1_lT_lT2_lS8_li
		.amdhsa_group_segment_fixed_size 0
		.amdhsa_private_segment_fixed_size 0
		.amdhsa_kernarg_size 76
		.amdhsa_user_sgpr_count 14
		.amdhsa_user_sgpr_dispatch_ptr 0
		.amdhsa_user_sgpr_queue_ptr 0
		.amdhsa_user_sgpr_kernarg_segment_ptr 1
		.amdhsa_user_sgpr_dispatch_id 0
		.amdhsa_user_sgpr_private_segment_size 0
		.amdhsa_wavefront_size32 1
		.amdhsa_uses_dynamic_stack 0
		.amdhsa_enable_private_segment 0
		.amdhsa_system_sgpr_workgroup_id_x 1
		.amdhsa_system_sgpr_workgroup_id_y 0
		.amdhsa_system_sgpr_workgroup_id_z 1
		.amdhsa_system_sgpr_workgroup_info 0
		.amdhsa_system_vgpr_workitem_id 0
		.amdhsa_next_free_vgpr 6
		.amdhsa_next_free_sgpr 16
		.amdhsa_reserve_vcc 1
		.amdhsa_float_round_mode_32 0
		.amdhsa_float_round_mode_16_64 0
		.amdhsa_float_denorm_mode_32 3
		.amdhsa_float_denorm_mode_16_64 3
		.amdhsa_dx10_clamp 1
		.amdhsa_ieee_mode 1
		.amdhsa_fp16_overflow 0
		.amdhsa_workgroup_processor_mode 1
		.amdhsa_memory_ordered 1
		.amdhsa_forward_progress 0
		.amdhsa_shared_vgpr_count 0
		.amdhsa_exception_fp_ieee_invalid_op 0
		.amdhsa_exception_fp_denorm_src 0
		.amdhsa_exception_fp_ieee_div_zero 0
		.amdhsa_exception_fp_ieee_overflow 0
		.amdhsa_exception_fp_ieee_underflow 0
		.amdhsa_exception_fp_ieee_inexact 0
		.amdhsa_exception_int_div_zero 0
	.end_amdhsa_kernel
	.section	.text._ZL19rocblas_copy_kernelIlLi256EPKPKDF16_PKPDF16_EviT1_lT_lT2_lS8_li,"axG",@progbits,_ZL19rocblas_copy_kernelIlLi256EPKPKDF16_PKPDF16_EviT1_lT_lT2_lS8_li,comdat
.Lfunc_end17:
	.size	_ZL19rocblas_copy_kernelIlLi256EPKPKDF16_PKPDF16_EviT1_lT_lT2_lS8_li, .Lfunc_end17-_ZL19rocblas_copy_kernelIlLi256EPKPKDF16_PKPDF16_EviT1_lT_lT2_lS8_li
                                        ; -- End function
	.section	.AMDGPU.csdata,"",@progbits
; Kernel info:
; codeLenInByte = 292
; NumSgprs: 18
; NumVgprs: 6
; ScratchSize: 0
; MemoryBound: 0
; FloatMode: 240
; IeeeMode: 1
; LDSByteSize: 0 bytes/workgroup (compile time only)
; SGPRBlocks: 2
; VGPRBlocks: 0
; NumSGPRsForWavesPerEU: 18
; NumVGPRsForWavesPerEU: 6
; Occupancy: 16
; WaveLimiterHint : 1
; COMPUTE_PGM_RSRC2:SCRATCH_EN: 0
; COMPUTE_PGM_RSRC2:USER_SGPR: 14
; COMPUTE_PGM_RSRC2:TRAP_HANDLER: 0
; COMPUTE_PGM_RSRC2:TGID_X_EN: 1
; COMPUTE_PGM_RSRC2:TGID_Y_EN: 0
; COMPUTE_PGM_RSRC2:TGID_Z_EN: 1
; COMPUTE_PGM_RSRC2:TIDIG_COMP_CNT: 0
	.section	.text._ZL19rocblas_copy_kernelIiLi256EPKPK19rocblas_complex_numIfEPKPS1_EviT1_lT_lT2_lSA_li,"axG",@progbits,_ZL19rocblas_copy_kernelIiLi256EPKPK19rocblas_complex_numIfEPKPS1_EviT1_lT_lT2_lSA_li,comdat
	.globl	_ZL19rocblas_copy_kernelIiLi256EPKPK19rocblas_complex_numIfEPKPS1_EviT1_lT_lT2_lSA_li ; -- Begin function _ZL19rocblas_copy_kernelIiLi256EPKPK19rocblas_complex_numIfEPKPS1_EviT1_lT_lT2_lSA_li
	.p2align	8
	.type	_ZL19rocblas_copy_kernelIiLi256EPKPK19rocblas_complex_numIfEPKPS1_EviT1_lT_lT2_lSA_li,@function
_ZL19rocblas_copy_kernelIiLi256EPKPK19rocblas_complex_numIfEPKPS1_EviT1_lT_lT2_lSA_li: ; @_ZL19rocblas_copy_kernelIiLi256EPKPK19rocblas_complex_numIfEPKPS1_EviT1_lT_lT2_lSA_li
; %bb.0:
	s_load_b32 s4, s[0:1], 0x0
	v_lshl_or_b32 v0, s14, 8, v0
	v_mov_b32_e32 v1, 0
	s_mov_b32 s3, exec_lo
	s_waitcnt lgkmcnt(0)
	s_ashr_i32 s5, s4, 31
	s_delay_alu instid0(VALU_DEP_1) | instid1(SALU_CYCLE_1)
	v_cmpx_gt_i64_e64 s[4:5], v[0:1]
	s_cbranch_execz .LBB18_2
; %bb.1:
	s_clause 0x2
	s_load_b32 s10, s[0:1], 0x18
	s_load_b32 s11, s[0:1], 0x38
	s_load_b128 s[4:7], s[0:1], 0x28
	s_mov_b32 s2, s15
	s_mov_b32 s3, 0
	s_delay_alu instid0(SALU_CYCLE_1)
	s_lshl_b64 s[8:9], s[2:3], 3
	s_waitcnt lgkmcnt(0)
	s_ashr_i32 s12, s10, 31
	s_ashr_i32 s13, s11, 31
	s_add_u32 s2, s4, s8
	s_addc_u32 s3, s5, s9
	s_lshl_b64 s[6:7], s[6:7], 3
	s_load_b64 s[4:5], s[2:3], 0x0
	s_load_b128 s[0:3], s[0:1], 0x8
	v_mad_u64_u32 v[1:2], null, s10, v0, 0
	s_delay_alu instid0(VALU_DEP_1) | instskip(NEXT) | instid1(VALU_DEP_1)
	v_mad_u64_u32 v[3:4], null, s12, v0, v[2:3]
	v_mov_b32_e32 v2, v3
	v_mad_u64_u32 v[3:4], null, s11, v0, 0
	s_waitcnt lgkmcnt(0)
	s_add_u32 s4, s4, s6
	s_addc_u32 s5, s5, s7
	s_add_u32 s0, s0, s8
	s_addc_u32 s1, s1, s9
	v_lshlrev_b64 v[1:2], 3, v[1:2]
	s_load_b64 s[0:1], s[0:1], 0x0
	s_lshl_b64 s[2:3], s[2:3], 3
	v_mad_u64_u32 v[5:6], null, s13, v0, v[4:5]
	s_delay_alu instid0(VALU_DEP_1) | instskip(NEXT) | instid1(VALU_DEP_1)
	v_mov_b32_e32 v4, v5
	v_lshlrev_b64 v[3:4], 3, v[3:4]
	s_waitcnt lgkmcnt(0)
	s_add_u32 s0, s0, s2
	s_addc_u32 s1, s1, s3
	v_add_co_u32 v1, vcc_lo, s0, v1
	v_add_co_ci_u32_e32 v2, vcc_lo, s1, v2, vcc_lo
	v_add_co_u32 v3, vcc_lo, s4, v3
	v_add_co_ci_u32_e32 v4, vcc_lo, s5, v4, vcc_lo
	global_load_b64 v[1:2], v[1:2], off
	s_waitcnt vmcnt(0)
	global_store_b64 v[3:4], v[1:2], off
.LBB18_2:
	s_nop 0
	s_sendmsg sendmsg(MSG_DEALLOC_VGPRS)
	s_endpgm
	.section	.rodata,"a",@progbits
	.p2align	6, 0x0
	.amdhsa_kernel _ZL19rocblas_copy_kernelIiLi256EPKPK19rocblas_complex_numIfEPKPS1_EviT1_lT_lT2_lSA_li
		.amdhsa_group_segment_fixed_size 0
		.amdhsa_private_segment_fixed_size 0
		.amdhsa_kernarg_size 76
		.amdhsa_user_sgpr_count 14
		.amdhsa_user_sgpr_dispatch_ptr 0
		.amdhsa_user_sgpr_queue_ptr 0
		.amdhsa_user_sgpr_kernarg_segment_ptr 1
		.amdhsa_user_sgpr_dispatch_id 0
		.amdhsa_user_sgpr_private_segment_size 0
		.amdhsa_wavefront_size32 1
		.amdhsa_uses_dynamic_stack 0
		.amdhsa_enable_private_segment 0
		.amdhsa_system_sgpr_workgroup_id_x 1
		.amdhsa_system_sgpr_workgroup_id_y 0
		.amdhsa_system_sgpr_workgroup_id_z 1
		.amdhsa_system_sgpr_workgroup_info 0
		.amdhsa_system_vgpr_workitem_id 0
		.amdhsa_next_free_vgpr 7
		.amdhsa_next_free_sgpr 16
		.amdhsa_reserve_vcc 1
		.amdhsa_float_round_mode_32 0
		.amdhsa_float_round_mode_16_64 0
		.amdhsa_float_denorm_mode_32 3
		.amdhsa_float_denorm_mode_16_64 3
		.amdhsa_dx10_clamp 1
		.amdhsa_ieee_mode 1
		.amdhsa_fp16_overflow 0
		.amdhsa_workgroup_processor_mode 1
		.amdhsa_memory_ordered 1
		.amdhsa_forward_progress 0
		.amdhsa_shared_vgpr_count 0
		.amdhsa_exception_fp_ieee_invalid_op 0
		.amdhsa_exception_fp_denorm_src 0
		.amdhsa_exception_fp_ieee_div_zero 0
		.amdhsa_exception_fp_ieee_overflow 0
		.amdhsa_exception_fp_ieee_underflow 0
		.amdhsa_exception_fp_ieee_inexact 0
		.amdhsa_exception_int_div_zero 0
	.end_amdhsa_kernel
	.section	.text._ZL19rocblas_copy_kernelIiLi256EPKPK19rocblas_complex_numIfEPKPS1_EviT1_lT_lT2_lSA_li,"axG",@progbits,_ZL19rocblas_copy_kernelIiLi256EPKPK19rocblas_complex_numIfEPKPS1_EviT1_lT_lT2_lSA_li,comdat
.Lfunc_end18:
	.size	_ZL19rocblas_copy_kernelIiLi256EPKPK19rocblas_complex_numIfEPKPS1_EviT1_lT_lT2_lSA_li, .Lfunc_end18-_ZL19rocblas_copy_kernelIiLi256EPKPK19rocblas_complex_numIfEPKPS1_EviT1_lT_lT2_lSA_li
                                        ; -- End function
	.section	.AMDGPU.csdata,"",@progbits
; Kernel info:
; codeLenInByte = 296
; NumSgprs: 18
; NumVgprs: 7
; ScratchSize: 0
; MemoryBound: 0
; FloatMode: 240
; IeeeMode: 1
; LDSByteSize: 0 bytes/workgroup (compile time only)
; SGPRBlocks: 2
; VGPRBlocks: 0
; NumSGPRsForWavesPerEU: 18
; NumVGPRsForWavesPerEU: 7
; Occupancy: 16
; WaveLimiterHint : 1
; COMPUTE_PGM_RSRC2:SCRATCH_EN: 0
; COMPUTE_PGM_RSRC2:USER_SGPR: 14
; COMPUTE_PGM_RSRC2:TRAP_HANDLER: 0
; COMPUTE_PGM_RSRC2:TGID_X_EN: 1
; COMPUTE_PGM_RSRC2:TGID_Y_EN: 0
; COMPUTE_PGM_RSRC2:TGID_Z_EN: 1
; COMPUTE_PGM_RSRC2:TIDIG_COMP_CNT: 0
	.section	.text._ZL19rocblas_copy_kernelIlLi256EPKPK19rocblas_complex_numIfEPKPS1_EviT1_lT_lT2_lSA_li,"axG",@progbits,_ZL19rocblas_copy_kernelIlLi256EPKPK19rocblas_complex_numIfEPKPS1_EviT1_lT_lT2_lSA_li,comdat
	.globl	_ZL19rocblas_copy_kernelIlLi256EPKPK19rocblas_complex_numIfEPKPS1_EviT1_lT_lT2_lSA_li ; -- Begin function _ZL19rocblas_copy_kernelIlLi256EPKPK19rocblas_complex_numIfEPKPS1_EviT1_lT_lT2_lSA_li
	.p2align	8
	.type	_ZL19rocblas_copy_kernelIlLi256EPKPK19rocblas_complex_numIfEPKPS1_EviT1_lT_lT2_lSA_li,@function
_ZL19rocblas_copy_kernelIlLi256EPKPK19rocblas_complex_numIfEPKPS1_EviT1_lT_lT2_lSA_li: ; @_ZL19rocblas_copy_kernelIlLi256EPKPK19rocblas_complex_numIfEPKPS1_EviT1_lT_lT2_lSA_li
; %bb.0:
	s_load_b32 s4, s[0:1], 0x0
	v_lshl_or_b32 v0, s14, 8, v0
	v_mov_b32_e32 v1, 0
	s_mov_b32 s3, exec_lo
	s_waitcnt lgkmcnt(0)
	s_ashr_i32 s5, s4, 31
	s_delay_alu instid0(VALU_DEP_1) | instid1(SALU_CYCLE_1)
	v_cmpx_gt_i64_e64 s[4:5], v[0:1]
	s_cbranch_execz .LBB19_2
; %bb.1:
	s_clause 0x1
	s_load_b128 s[4:7], s[0:1], 0x28
	s_load_b64 s[8:9], s[0:1], 0x18
	s_mov_b32 s2, s15
	s_mov_b32 s3, 0
	s_load_b64 s[12:13], s[0:1], 0x38
	s_lshl_b64 s[10:11], s[2:3], 3
	s_waitcnt lgkmcnt(0)
	s_add_u32 s2, s4, s10
	s_addc_u32 s3, s5, s11
	s_lshl_b64 s[6:7], s[6:7], 3
	s_load_b64 s[4:5], s[2:3], 0x0
	s_load_b128 s[0:3], s[0:1], 0x8
	v_mad_u64_u32 v[1:2], null, v0, s8, 0
	s_delay_alu instid0(VALU_DEP_1) | instskip(NEXT) | instid1(VALU_DEP_1)
	v_mad_u64_u32 v[3:4], null, v0, s9, v[2:3]
	v_mov_b32_e32 v2, v3
	v_mad_u64_u32 v[3:4], null, v0, s12, 0
	s_waitcnt lgkmcnt(0)
	s_add_u32 s4, s4, s6
	s_addc_u32 s5, s5, s7
	s_add_u32 s0, s0, s10
	s_addc_u32 s1, s1, s11
	v_lshlrev_b64 v[1:2], 3, v[1:2]
	s_load_b64 s[0:1], s[0:1], 0x0
	s_lshl_b64 s[2:3], s[2:3], 3
	v_mad_u64_u32 v[5:6], null, v0, s13, v[4:5]
	s_delay_alu instid0(VALU_DEP_1) | instskip(NEXT) | instid1(VALU_DEP_1)
	v_mov_b32_e32 v4, v5
	v_lshlrev_b64 v[3:4], 3, v[3:4]
	s_waitcnt lgkmcnt(0)
	s_add_u32 s0, s0, s2
	s_addc_u32 s1, s1, s3
	v_add_co_u32 v1, vcc_lo, s0, v1
	v_add_co_ci_u32_e32 v2, vcc_lo, s1, v2, vcc_lo
	v_add_co_u32 v3, vcc_lo, s4, v3
	v_add_co_ci_u32_e32 v4, vcc_lo, s5, v4, vcc_lo
	global_load_b64 v[1:2], v[1:2], off
	s_waitcnt vmcnt(0)
	global_store_b64 v[3:4], v[1:2], off
.LBB19_2:
	s_nop 0
	s_sendmsg sendmsg(MSG_DEALLOC_VGPRS)
	s_endpgm
	.section	.rodata,"a",@progbits
	.p2align	6, 0x0
	.amdhsa_kernel _ZL19rocblas_copy_kernelIlLi256EPKPK19rocblas_complex_numIfEPKPS1_EviT1_lT_lT2_lSA_li
		.amdhsa_group_segment_fixed_size 0
		.amdhsa_private_segment_fixed_size 0
		.amdhsa_kernarg_size 76
		.amdhsa_user_sgpr_count 14
		.amdhsa_user_sgpr_dispatch_ptr 0
		.amdhsa_user_sgpr_queue_ptr 0
		.amdhsa_user_sgpr_kernarg_segment_ptr 1
		.amdhsa_user_sgpr_dispatch_id 0
		.amdhsa_user_sgpr_private_segment_size 0
		.amdhsa_wavefront_size32 1
		.amdhsa_uses_dynamic_stack 0
		.amdhsa_enable_private_segment 0
		.amdhsa_system_sgpr_workgroup_id_x 1
		.amdhsa_system_sgpr_workgroup_id_y 0
		.amdhsa_system_sgpr_workgroup_id_z 1
		.amdhsa_system_sgpr_workgroup_info 0
		.amdhsa_system_vgpr_workitem_id 0
		.amdhsa_next_free_vgpr 7
		.amdhsa_next_free_sgpr 16
		.amdhsa_reserve_vcc 1
		.amdhsa_float_round_mode_32 0
		.amdhsa_float_round_mode_16_64 0
		.amdhsa_float_denorm_mode_32 3
		.amdhsa_float_denorm_mode_16_64 3
		.amdhsa_dx10_clamp 1
		.amdhsa_ieee_mode 1
		.amdhsa_fp16_overflow 0
		.amdhsa_workgroup_processor_mode 1
		.amdhsa_memory_ordered 1
		.amdhsa_forward_progress 0
		.amdhsa_shared_vgpr_count 0
		.amdhsa_exception_fp_ieee_invalid_op 0
		.amdhsa_exception_fp_denorm_src 0
		.amdhsa_exception_fp_ieee_div_zero 0
		.amdhsa_exception_fp_ieee_overflow 0
		.amdhsa_exception_fp_ieee_underflow 0
		.amdhsa_exception_fp_ieee_inexact 0
		.amdhsa_exception_int_div_zero 0
	.end_amdhsa_kernel
	.section	.text._ZL19rocblas_copy_kernelIlLi256EPKPK19rocblas_complex_numIfEPKPS1_EviT1_lT_lT2_lSA_li,"axG",@progbits,_ZL19rocblas_copy_kernelIlLi256EPKPK19rocblas_complex_numIfEPKPS1_EviT1_lT_lT2_lSA_li,comdat
.Lfunc_end19:
	.size	_ZL19rocblas_copy_kernelIlLi256EPKPK19rocblas_complex_numIfEPKPS1_EviT1_lT_lT2_lSA_li, .Lfunc_end19-_ZL19rocblas_copy_kernelIlLi256EPKPK19rocblas_complex_numIfEPKPS1_EviT1_lT_lT2_lSA_li
                                        ; -- End function
	.section	.AMDGPU.csdata,"",@progbits
; Kernel info:
; codeLenInByte = 284
; NumSgprs: 18
; NumVgprs: 7
; ScratchSize: 0
; MemoryBound: 0
; FloatMode: 240
; IeeeMode: 1
; LDSByteSize: 0 bytes/workgroup (compile time only)
; SGPRBlocks: 2
; VGPRBlocks: 0
; NumSGPRsForWavesPerEU: 18
; NumVGPRsForWavesPerEU: 7
; Occupancy: 16
; WaveLimiterHint : 1
; COMPUTE_PGM_RSRC2:SCRATCH_EN: 0
; COMPUTE_PGM_RSRC2:USER_SGPR: 14
; COMPUTE_PGM_RSRC2:TRAP_HANDLER: 0
; COMPUTE_PGM_RSRC2:TGID_X_EN: 1
; COMPUTE_PGM_RSRC2:TGID_Y_EN: 0
; COMPUTE_PGM_RSRC2:TGID_Z_EN: 1
; COMPUTE_PGM_RSRC2:TIDIG_COMP_CNT: 0
	.section	.text._ZL19rocblas_copy_kernelIiLi256EPKPK19rocblas_complex_numIdEPKPS1_EviT1_lT_lT2_lSA_li,"axG",@progbits,_ZL19rocblas_copy_kernelIiLi256EPKPK19rocblas_complex_numIdEPKPS1_EviT1_lT_lT2_lSA_li,comdat
	.globl	_ZL19rocblas_copy_kernelIiLi256EPKPK19rocblas_complex_numIdEPKPS1_EviT1_lT_lT2_lSA_li ; -- Begin function _ZL19rocblas_copy_kernelIiLi256EPKPK19rocblas_complex_numIdEPKPS1_EviT1_lT_lT2_lSA_li
	.p2align	8
	.type	_ZL19rocblas_copy_kernelIiLi256EPKPK19rocblas_complex_numIdEPKPS1_EviT1_lT_lT2_lSA_li,@function
_ZL19rocblas_copy_kernelIiLi256EPKPK19rocblas_complex_numIdEPKPS1_EviT1_lT_lT2_lSA_li: ; @_ZL19rocblas_copy_kernelIiLi256EPKPK19rocblas_complex_numIdEPKPS1_EviT1_lT_lT2_lSA_li
; %bb.0:
	s_load_b32 s4, s[0:1], 0x0
	v_lshl_or_b32 v0, s14, 8, v0
	v_mov_b32_e32 v1, 0
	s_mov_b32 s3, exec_lo
	s_waitcnt lgkmcnt(0)
	s_ashr_i32 s5, s4, 31
	s_delay_alu instid0(VALU_DEP_1) | instid1(SALU_CYCLE_1)
	v_cmpx_gt_i64_e64 s[4:5], v[0:1]
	s_cbranch_execz .LBB20_2
; %bb.1:
	s_clause 0x2
	s_load_b32 s10, s[0:1], 0x18
	s_load_b32 s11, s[0:1], 0x38
	s_load_b128 s[4:7], s[0:1], 0x28
	s_mov_b32 s2, s15
	s_mov_b32 s3, 0
	s_delay_alu instid0(SALU_CYCLE_1)
	s_lshl_b64 s[8:9], s[2:3], 3
	s_waitcnt lgkmcnt(0)
	s_ashr_i32 s12, s10, 31
	s_ashr_i32 s13, s11, 31
	s_add_u32 s2, s4, s8
	s_addc_u32 s3, s5, s9
	s_lshl_b64 s[6:7], s[6:7], 4
	s_load_b64 s[4:5], s[2:3], 0x0
	s_load_b128 s[0:3], s[0:1], 0x8
	v_mad_u64_u32 v[1:2], null, s10, v0, 0
	v_mad_u64_u32 v[5:6], null, s11, v0, 0
	s_delay_alu instid0(VALU_DEP_2) | instskip(NEXT) | instid1(VALU_DEP_2)
	v_mad_u64_u32 v[3:4], null, s12, v0, v[2:3]
	v_mad_u64_u32 v[7:8], null, s13, v0, v[6:7]
	s_delay_alu instid0(VALU_DEP_2) | instskip(NEXT) | instid1(VALU_DEP_2)
	v_mov_b32_e32 v2, v3
	v_mov_b32_e32 v6, v7
	s_waitcnt lgkmcnt(0)
	s_add_u32 s4, s4, s6
	s_addc_u32 s5, s5, s7
	s_add_u32 s0, s0, s8
	s_addc_u32 s1, s1, s9
	v_lshlrev_b64 v[1:2], 4, v[1:2]
	s_load_b64 s[0:1], s[0:1], 0x0
	s_lshl_b64 s[2:3], s[2:3], 4
	v_lshlrev_b64 v[5:6], 4, v[5:6]
	s_waitcnt lgkmcnt(0)
	s_add_u32 s0, s0, s2
	s_addc_u32 s1, s1, s3
	v_add_co_u32 v1, vcc_lo, s0, v1
	v_add_co_ci_u32_e32 v2, vcc_lo, s1, v2, vcc_lo
	v_add_co_u32 v5, vcc_lo, s4, v5
	v_add_co_ci_u32_e32 v6, vcc_lo, s5, v6, vcc_lo
	global_load_b128 v[1:4], v[1:2], off
	s_waitcnt vmcnt(0)
	global_store_b128 v[5:6], v[1:4], off
.LBB20_2:
	s_nop 0
	s_sendmsg sendmsg(MSG_DEALLOC_VGPRS)
	s_endpgm
	.section	.rodata,"a",@progbits
	.p2align	6, 0x0
	.amdhsa_kernel _ZL19rocblas_copy_kernelIiLi256EPKPK19rocblas_complex_numIdEPKPS1_EviT1_lT_lT2_lSA_li
		.amdhsa_group_segment_fixed_size 0
		.amdhsa_private_segment_fixed_size 0
		.amdhsa_kernarg_size 76
		.amdhsa_user_sgpr_count 14
		.amdhsa_user_sgpr_dispatch_ptr 0
		.amdhsa_user_sgpr_queue_ptr 0
		.amdhsa_user_sgpr_kernarg_segment_ptr 1
		.amdhsa_user_sgpr_dispatch_id 0
		.amdhsa_user_sgpr_private_segment_size 0
		.amdhsa_wavefront_size32 1
		.amdhsa_uses_dynamic_stack 0
		.amdhsa_enable_private_segment 0
		.amdhsa_system_sgpr_workgroup_id_x 1
		.amdhsa_system_sgpr_workgroup_id_y 0
		.amdhsa_system_sgpr_workgroup_id_z 1
		.amdhsa_system_sgpr_workgroup_info 0
		.amdhsa_system_vgpr_workitem_id 0
		.amdhsa_next_free_vgpr 9
		.amdhsa_next_free_sgpr 16
		.amdhsa_reserve_vcc 1
		.amdhsa_float_round_mode_32 0
		.amdhsa_float_round_mode_16_64 0
		.amdhsa_float_denorm_mode_32 3
		.amdhsa_float_denorm_mode_16_64 3
		.amdhsa_dx10_clamp 1
		.amdhsa_ieee_mode 1
		.amdhsa_fp16_overflow 0
		.amdhsa_workgroup_processor_mode 1
		.amdhsa_memory_ordered 1
		.amdhsa_forward_progress 0
		.amdhsa_shared_vgpr_count 0
		.amdhsa_exception_fp_ieee_invalid_op 0
		.amdhsa_exception_fp_denorm_src 0
		.amdhsa_exception_fp_ieee_div_zero 0
		.amdhsa_exception_fp_ieee_overflow 0
		.amdhsa_exception_fp_ieee_underflow 0
		.amdhsa_exception_fp_ieee_inexact 0
		.amdhsa_exception_int_div_zero 0
	.end_amdhsa_kernel
	.section	.text._ZL19rocblas_copy_kernelIiLi256EPKPK19rocblas_complex_numIdEPKPS1_EviT1_lT_lT2_lSA_li,"axG",@progbits,_ZL19rocblas_copy_kernelIiLi256EPKPK19rocblas_complex_numIdEPKPS1_EviT1_lT_lT2_lSA_li,comdat
.Lfunc_end20:
	.size	_ZL19rocblas_copy_kernelIiLi256EPKPK19rocblas_complex_numIdEPKPS1_EviT1_lT_lT2_lSA_li, .Lfunc_end20-_ZL19rocblas_copy_kernelIiLi256EPKPK19rocblas_complex_numIdEPKPS1_EviT1_lT_lT2_lSA_li
                                        ; -- End function
	.section	.AMDGPU.csdata,"",@progbits
; Kernel info:
; codeLenInByte = 296
; NumSgprs: 18
; NumVgprs: 9
; ScratchSize: 0
; MemoryBound: 0
; FloatMode: 240
; IeeeMode: 1
; LDSByteSize: 0 bytes/workgroup (compile time only)
; SGPRBlocks: 2
; VGPRBlocks: 1
; NumSGPRsForWavesPerEU: 18
; NumVGPRsForWavesPerEU: 9
; Occupancy: 16
; WaveLimiterHint : 1
; COMPUTE_PGM_RSRC2:SCRATCH_EN: 0
; COMPUTE_PGM_RSRC2:USER_SGPR: 14
; COMPUTE_PGM_RSRC2:TRAP_HANDLER: 0
; COMPUTE_PGM_RSRC2:TGID_X_EN: 1
; COMPUTE_PGM_RSRC2:TGID_Y_EN: 0
; COMPUTE_PGM_RSRC2:TGID_Z_EN: 1
; COMPUTE_PGM_RSRC2:TIDIG_COMP_CNT: 0
	.section	.text._ZL19rocblas_copy_kernelIlLi256EPKPK19rocblas_complex_numIdEPKPS1_EviT1_lT_lT2_lSA_li,"axG",@progbits,_ZL19rocblas_copy_kernelIlLi256EPKPK19rocblas_complex_numIdEPKPS1_EviT1_lT_lT2_lSA_li,comdat
	.globl	_ZL19rocblas_copy_kernelIlLi256EPKPK19rocblas_complex_numIdEPKPS1_EviT1_lT_lT2_lSA_li ; -- Begin function _ZL19rocblas_copy_kernelIlLi256EPKPK19rocblas_complex_numIdEPKPS1_EviT1_lT_lT2_lSA_li
	.p2align	8
	.type	_ZL19rocblas_copy_kernelIlLi256EPKPK19rocblas_complex_numIdEPKPS1_EviT1_lT_lT2_lSA_li,@function
_ZL19rocblas_copy_kernelIlLi256EPKPK19rocblas_complex_numIdEPKPS1_EviT1_lT_lT2_lSA_li: ; @_ZL19rocblas_copy_kernelIlLi256EPKPK19rocblas_complex_numIdEPKPS1_EviT1_lT_lT2_lSA_li
; %bb.0:
	s_load_b32 s4, s[0:1], 0x0
	v_lshl_or_b32 v0, s14, 8, v0
	v_mov_b32_e32 v1, 0
	s_mov_b32 s3, exec_lo
	s_waitcnt lgkmcnt(0)
	s_ashr_i32 s5, s4, 31
	s_delay_alu instid0(VALU_DEP_1) | instid1(SALU_CYCLE_1)
	v_cmpx_gt_i64_e64 s[4:5], v[0:1]
	s_cbranch_execz .LBB21_2
; %bb.1:
	s_clause 0x1
	s_load_b128 s[4:7], s[0:1], 0x28
	s_load_b64 s[8:9], s[0:1], 0x18
	s_mov_b32 s2, s15
	s_mov_b32 s3, 0
	s_load_b64 s[12:13], s[0:1], 0x38
	s_lshl_b64 s[10:11], s[2:3], 3
	s_waitcnt lgkmcnt(0)
	s_add_u32 s2, s4, s10
	s_addc_u32 s3, s5, s11
	s_lshl_b64 s[6:7], s[6:7], 4
	s_load_b64 s[4:5], s[2:3], 0x0
	s_load_b128 s[0:3], s[0:1], 0x8
	v_mad_u64_u32 v[1:2], null, v0, s8, 0
	v_mad_u64_u32 v[5:6], null, v0, s12, 0
	s_delay_alu instid0(VALU_DEP_2) | instskip(NEXT) | instid1(VALU_DEP_2)
	v_mad_u64_u32 v[3:4], null, v0, s9, v[2:3]
	v_mad_u64_u32 v[7:8], null, v0, s13, v[6:7]
	s_delay_alu instid0(VALU_DEP_2) | instskip(NEXT) | instid1(VALU_DEP_2)
	v_mov_b32_e32 v2, v3
	v_mov_b32_e32 v6, v7
	s_waitcnt lgkmcnt(0)
	s_add_u32 s4, s4, s6
	s_addc_u32 s5, s5, s7
	s_add_u32 s0, s0, s10
	s_addc_u32 s1, s1, s11
	v_lshlrev_b64 v[1:2], 4, v[1:2]
	s_load_b64 s[0:1], s[0:1], 0x0
	s_lshl_b64 s[2:3], s[2:3], 4
	v_lshlrev_b64 v[5:6], 4, v[5:6]
	s_waitcnt lgkmcnt(0)
	s_add_u32 s0, s0, s2
	s_addc_u32 s1, s1, s3
	v_add_co_u32 v1, vcc_lo, s0, v1
	v_add_co_ci_u32_e32 v2, vcc_lo, s1, v2, vcc_lo
	v_add_co_u32 v5, vcc_lo, s4, v5
	v_add_co_ci_u32_e32 v6, vcc_lo, s5, v6, vcc_lo
	global_load_b128 v[1:4], v[1:2], off
	s_waitcnt vmcnt(0)
	global_store_b128 v[5:6], v[1:4], off
.LBB21_2:
	s_nop 0
	s_sendmsg sendmsg(MSG_DEALLOC_VGPRS)
	s_endpgm
	.section	.rodata,"a",@progbits
	.p2align	6, 0x0
	.amdhsa_kernel _ZL19rocblas_copy_kernelIlLi256EPKPK19rocblas_complex_numIdEPKPS1_EviT1_lT_lT2_lSA_li
		.amdhsa_group_segment_fixed_size 0
		.amdhsa_private_segment_fixed_size 0
		.amdhsa_kernarg_size 76
		.amdhsa_user_sgpr_count 14
		.amdhsa_user_sgpr_dispatch_ptr 0
		.amdhsa_user_sgpr_queue_ptr 0
		.amdhsa_user_sgpr_kernarg_segment_ptr 1
		.amdhsa_user_sgpr_dispatch_id 0
		.amdhsa_user_sgpr_private_segment_size 0
		.amdhsa_wavefront_size32 1
		.amdhsa_uses_dynamic_stack 0
		.amdhsa_enable_private_segment 0
		.amdhsa_system_sgpr_workgroup_id_x 1
		.amdhsa_system_sgpr_workgroup_id_y 0
		.amdhsa_system_sgpr_workgroup_id_z 1
		.amdhsa_system_sgpr_workgroup_info 0
		.amdhsa_system_vgpr_workitem_id 0
		.amdhsa_next_free_vgpr 9
		.amdhsa_next_free_sgpr 16
		.amdhsa_reserve_vcc 1
		.amdhsa_float_round_mode_32 0
		.amdhsa_float_round_mode_16_64 0
		.amdhsa_float_denorm_mode_32 3
		.amdhsa_float_denorm_mode_16_64 3
		.amdhsa_dx10_clamp 1
		.amdhsa_ieee_mode 1
		.amdhsa_fp16_overflow 0
		.amdhsa_workgroup_processor_mode 1
		.amdhsa_memory_ordered 1
		.amdhsa_forward_progress 0
		.amdhsa_shared_vgpr_count 0
		.amdhsa_exception_fp_ieee_invalid_op 0
		.amdhsa_exception_fp_denorm_src 0
		.amdhsa_exception_fp_ieee_div_zero 0
		.amdhsa_exception_fp_ieee_overflow 0
		.amdhsa_exception_fp_ieee_underflow 0
		.amdhsa_exception_fp_ieee_inexact 0
		.amdhsa_exception_int_div_zero 0
	.end_amdhsa_kernel
	.section	.text._ZL19rocblas_copy_kernelIlLi256EPKPK19rocblas_complex_numIdEPKPS1_EviT1_lT_lT2_lSA_li,"axG",@progbits,_ZL19rocblas_copy_kernelIlLi256EPKPK19rocblas_complex_numIdEPKPS1_EviT1_lT_lT2_lSA_li,comdat
.Lfunc_end21:
	.size	_ZL19rocblas_copy_kernelIlLi256EPKPK19rocblas_complex_numIdEPKPS1_EviT1_lT_lT2_lSA_li, .Lfunc_end21-_ZL19rocblas_copy_kernelIlLi256EPKPK19rocblas_complex_numIdEPKPS1_EviT1_lT_lT2_lSA_li
                                        ; -- End function
	.section	.AMDGPU.csdata,"",@progbits
; Kernel info:
; codeLenInByte = 284
; NumSgprs: 18
; NumVgprs: 9
; ScratchSize: 0
; MemoryBound: 0
; FloatMode: 240
; IeeeMode: 1
; LDSByteSize: 0 bytes/workgroup (compile time only)
; SGPRBlocks: 2
; VGPRBlocks: 1
; NumSGPRsForWavesPerEU: 18
; NumVGPRsForWavesPerEU: 9
; Occupancy: 16
; WaveLimiterHint : 1
; COMPUTE_PGM_RSRC2:SCRATCH_EN: 0
; COMPUTE_PGM_RSRC2:USER_SGPR: 14
; COMPUTE_PGM_RSRC2:TRAP_HANDLER: 0
; COMPUTE_PGM_RSRC2:TGID_X_EN: 1
; COMPUTE_PGM_RSRC2:TGID_Y_EN: 0
; COMPUTE_PGM_RSRC2:TGID_Z_EN: 1
; COMPUTE_PGM_RSRC2:TIDIG_COMP_CNT: 0
	.text
	.p2alignl 7, 3214868480
	.fill 96, 4, 3214868480
	.type	__hip_cuid_400ef25cfc3a8e3c,@object ; @__hip_cuid_400ef25cfc3a8e3c
	.section	.bss,"aw",@nobits
	.globl	__hip_cuid_400ef25cfc3a8e3c
__hip_cuid_400ef25cfc3a8e3c:
	.byte	0                               ; 0x0
	.size	__hip_cuid_400ef25cfc3a8e3c, 1

	.ident	"AMD clang version 19.0.0git (https://github.com/RadeonOpenCompute/llvm-project roc-6.4.0 25133 c7fe45cf4b819c5991fe208aaa96edf142730f1d)"
	.section	".note.GNU-stack","",@progbits
	.addrsig
	.addrsig_sym __hip_cuid_400ef25cfc3a8e3c
	.amdgpu_metadata
---
amdhsa.kernels:
  - .args:
      - .offset:         0
        .size:           4
        .value_kind:     by_value
      - .address_space:  global
        .offset:         8
        .size:           8
        .value_kind:     global_buffer
      - .offset:         16
        .size:           8
        .value_kind:     by_value
      - .offset:         24
        .size:           4
        .value_kind:     by_value
      - .offset:         32
        .size:           8
        .value_kind:     by_value
      - .address_space:  global
        .offset:         40
        .size:           8
        .value_kind:     global_buffer
      - .offset:         48
        .size:           8
        .value_kind:     by_value
      - .offset:         56
        .size:           4
        .value_kind:     by_value
      - .offset:         64
        .size:           8
        .value_kind:     by_value
      - .offset:         72
        .size:           4
        .value_kind:     by_value
    .group_segment_fixed_size: 0
    .kernarg_segment_align: 8
    .kernarg_segment_size: 76
    .language:       OpenCL C
    .language_version:
      - 2
      - 0
    .max_flat_workgroup_size: 256
    .name:           _ZL19rocblas_copy_kernelIiLi256EPKfPfEviT1_lT_lT2_lS4_li
    .private_segment_fixed_size: 0
    .sgpr_count:     19
    .sgpr_spill_count: 0
    .symbol:         _ZL19rocblas_copy_kernelIiLi256EPKfPfEviT1_lT_lT2_lS4_li.kd
    .uniform_work_group_size: 1
    .uses_dynamic_stack: false
    .vgpr_count:     6
    .vgpr_spill_count: 0
    .wavefront_size: 32
    .workgroup_processor_mode: 1
  - .args:
      - .offset:         0
        .size:           4
        .value_kind:     by_value
      - .actual_access:  read_only
        .address_space:  global
        .offset:         8
        .size:           8
        .value_kind:     global_buffer
      - .offset:         16
        .size:           8
        .value_kind:     by_value
      - .offset:         24
        .size:           8
        .value_kind:     by_value
      - .actual_access:  write_only
        .address_space:  global
        .offset:         32
        .size:           8
        .value_kind:     global_buffer
      - .offset:         40
        .size:           8
        .value_kind:     by_value
      - .offset:         48
        .size:           8
        .value_kind:     by_value
      - .offset:         56
        .size:           4
        .value_kind:     by_value
    .group_segment_fixed_size: 0
    .kernarg_segment_align: 8
    .kernarg_segment_size: 60
    .language:       OpenCL C
    .language_version:
      - 2
      - 0
    .max_flat_workgroup_size: 256
    .name:           _ZL22rocblas_scopy_2_kernelILi256EPKfPfEviT0_llT1_lli
    .private_segment_fixed_size: 0
    .sgpr_count:     20
    .sgpr_spill_count: 0
    .symbol:         _ZL22rocblas_scopy_2_kernelILi256EPKfPfEviT0_llT1_lli.kd
    .uniform_work_group_size: 1
    .uses_dynamic_stack: false
    .vgpr_count:     8
    .vgpr_spill_count: 0
    .wavefront_size: 32
    .workgroup_processor_mode: 1
  - .args:
      - .offset:         0
        .size:           4
        .value_kind:     by_value
      - .address_space:  global
        .offset:         8
        .size:           8
        .value_kind:     global_buffer
      - .offset:         16
        .size:           8
        .value_kind:     by_value
      - .offset:         24
        .size:           8
        .value_kind:     by_value
      - .offset:         32
        .size:           8
        .value_kind:     by_value
      - .address_space:  global
        .offset:         40
        .size:           8
        .value_kind:     global_buffer
      - .offset:         48
        .size:           8
        .value_kind:     by_value
      - .offset:         56
        .size:           8
        .value_kind:     by_value
      - .offset:         64
        .size:           8
        .value_kind:     by_value
      - .offset:         72
        .size:           4
        .value_kind:     by_value
    .group_segment_fixed_size: 0
    .kernarg_segment_align: 8
    .kernarg_segment_size: 76
    .language:       OpenCL C
    .language_version:
      - 2
      - 0
    .max_flat_workgroup_size: 256
    .name:           _ZL19rocblas_copy_kernelIlLi256EPKfPfEviT1_lT_lT2_lS4_li
    .private_segment_fixed_size: 0
    .sgpr_count:     34
    .sgpr_spill_count: 0
    .symbol:         _ZL19rocblas_copy_kernelIlLi256EPKfPfEviT1_lT_lT2_lS4_li.kd
    .uniform_work_group_size: 1
    .uses_dynamic_stack: false
    .vgpr_count:     6
    .vgpr_spill_count: 0
    .wavefront_size: 32
    .workgroup_processor_mode: 1
  - .args:
      - .offset:         0
        .size:           4
        .value_kind:     by_value
      - .address_space:  global
        .offset:         8
        .size:           8
        .value_kind:     global_buffer
      - .offset:         16
        .size:           8
        .value_kind:     by_value
      - .offset:         24
        .size:           4
        .value_kind:     by_value
      - .offset:         32
        .size:           8
        .value_kind:     by_value
      - .address_space:  global
        .offset:         40
        .size:           8
        .value_kind:     global_buffer
      - .offset:         48
        .size:           8
        .value_kind:     by_value
      - .offset:         56
        .size:           4
        .value_kind:     by_value
      - .offset:         64
        .size:           8
        .value_kind:     by_value
      - .offset:         72
        .size:           4
        .value_kind:     by_value
    .group_segment_fixed_size: 0
    .kernarg_segment_align: 8
    .kernarg_segment_size: 76
    .language:       OpenCL C
    .language_version:
      - 2
      - 0
    .max_flat_workgroup_size: 256
    .name:           _ZL19rocblas_copy_kernelIiLi256EPKdPdEviT1_lT_lT2_lS4_li
    .private_segment_fixed_size: 0
    .sgpr_count:     19
    .sgpr_spill_count: 0
    .symbol:         _ZL19rocblas_copy_kernelIiLi256EPKdPdEviT1_lT_lT2_lS4_li.kd
    .uniform_work_group_size: 1
    .uses_dynamic_stack: false
    .vgpr_count:     7
    .vgpr_spill_count: 0
    .wavefront_size: 32
    .workgroup_processor_mode: 1
  - .args:
      - .offset:         0
        .size:           4
        .value_kind:     by_value
      - .address_space:  global
        .offset:         8
        .size:           8
        .value_kind:     global_buffer
      - .offset:         16
        .size:           8
        .value_kind:     by_value
      - .offset:         24
        .size:           8
        .value_kind:     by_value
      - .offset:         32
        .size:           8
        .value_kind:     by_value
      - .address_space:  global
        .offset:         40
        .size:           8
        .value_kind:     global_buffer
      - .offset:         48
        .size:           8
        .value_kind:     by_value
      - .offset:         56
        .size:           8
        .value_kind:     by_value
      - .offset:         64
        .size:           8
        .value_kind:     by_value
      - .offset:         72
        .size:           4
        .value_kind:     by_value
    .group_segment_fixed_size: 0
    .kernarg_segment_align: 8
    .kernarg_segment_size: 76
    .language:       OpenCL C
    .language_version:
      - 2
      - 0
    .max_flat_workgroup_size: 256
    .name:           _ZL19rocblas_copy_kernelIlLi256EPKdPdEviT1_lT_lT2_lS4_li
    .private_segment_fixed_size: 0
    .sgpr_count:     34
    .sgpr_spill_count: 0
    .symbol:         _ZL19rocblas_copy_kernelIlLi256EPKdPdEviT1_lT_lT2_lS4_li.kd
    .uniform_work_group_size: 1
    .uses_dynamic_stack: false
    .vgpr_count:     7
    .vgpr_spill_count: 0
    .wavefront_size: 32
    .workgroup_processor_mode: 1
  - .args:
      - .offset:         0
        .size:           4
        .value_kind:     by_value
      - .address_space:  global
        .offset:         8
        .size:           8
        .value_kind:     global_buffer
      - .offset:         16
        .size:           8
        .value_kind:     by_value
      - .offset:         24
        .size:           4
        .value_kind:     by_value
      - .offset:         32
        .size:           8
        .value_kind:     by_value
      - .address_space:  global
        .offset:         40
        .size:           8
        .value_kind:     global_buffer
      - .offset:         48
        .size:           8
        .value_kind:     by_value
      - .offset:         56
        .size:           4
        .value_kind:     by_value
      - .offset:         64
        .size:           8
        .value_kind:     by_value
      - .offset:         72
        .size:           4
        .value_kind:     by_value
    .group_segment_fixed_size: 0
    .kernarg_segment_align: 8
    .kernarg_segment_size: 76
    .language:       OpenCL C
    .language_version:
      - 2
      - 0
    .max_flat_workgroup_size: 256
    .name:           _ZL19rocblas_copy_kernelIiLi256EPKDF16_PDF16_EviT1_lT_lT2_lS4_li
    .private_segment_fixed_size: 0
    .sgpr_count:     19
    .sgpr_spill_count: 0
    .symbol:         _ZL19rocblas_copy_kernelIiLi256EPKDF16_PDF16_EviT1_lT_lT2_lS4_li.kd
    .uniform_work_group_size: 1
    .uses_dynamic_stack: false
    .vgpr_count:     6
    .vgpr_spill_count: 0
    .wavefront_size: 32
    .workgroup_processor_mode: 1
  - .args:
      - .offset:         0
        .size:           4
        .value_kind:     by_value
      - .address_space:  global
        .offset:         8
        .size:           8
        .value_kind:     global_buffer
      - .offset:         16
        .size:           8
        .value_kind:     by_value
      - .offset:         24
        .size:           8
        .value_kind:     by_value
      - .offset:         32
        .size:           8
        .value_kind:     by_value
      - .address_space:  global
        .offset:         40
        .size:           8
        .value_kind:     global_buffer
      - .offset:         48
        .size:           8
        .value_kind:     by_value
      - .offset:         56
        .size:           8
        .value_kind:     by_value
      - .offset:         64
        .size:           8
        .value_kind:     by_value
      - .offset:         72
        .size:           4
        .value_kind:     by_value
    .group_segment_fixed_size: 0
    .kernarg_segment_align: 8
    .kernarg_segment_size: 76
    .language:       OpenCL C
    .language_version:
      - 2
      - 0
    .max_flat_workgroup_size: 256
    .name:           _ZL19rocblas_copy_kernelIlLi256EPKDF16_PDF16_EviT1_lT_lT2_lS4_li
    .private_segment_fixed_size: 0
    .sgpr_count:     34
    .sgpr_spill_count: 0
    .symbol:         _ZL19rocblas_copy_kernelIlLi256EPKDF16_PDF16_EviT1_lT_lT2_lS4_li.kd
    .uniform_work_group_size: 1
    .uses_dynamic_stack: false
    .vgpr_count:     6
    .vgpr_spill_count: 0
    .wavefront_size: 32
    .workgroup_processor_mode: 1
  - .args:
      - .offset:         0
        .size:           4
        .value_kind:     by_value
      - .address_space:  global
        .offset:         8
        .size:           8
        .value_kind:     global_buffer
      - .offset:         16
        .size:           8
        .value_kind:     by_value
      - .offset:         24
        .size:           4
        .value_kind:     by_value
      - .offset:         32
        .size:           8
        .value_kind:     by_value
      - .address_space:  global
        .offset:         40
        .size:           8
        .value_kind:     global_buffer
      - .offset:         48
        .size:           8
        .value_kind:     by_value
      - .offset:         56
        .size:           4
        .value_kind:     by_value
      - .offset:         64
        .size:           8
        .value_kind:     by_value
      - .offset:         72
        .size:           4
        .value_kind:     by_value
    .group_segment_fixed_size: 0
    .kernarg_segment_align: 8
    .kernarg_segment_size: 76
    .language:       OpenCL C
    .language_version:
      - 2
      - 0
    .max_flat_workgroup_size: 256
    .name:           _ZL19rocblas_copy_kernelIiLi256EPK19rocblas_complex_numIfEPS1_EviT1_lT_lT2_lS6_li
    .private_segment_fixed_size: 0
    .sgpr_count:     19
    .sgpr_spill_count: 0
    .symbol:         _ZL19rocblas_copy_kernelIiLi256EPK19rocblas_complex_numIfEPS1_EviT1_lT_lT2_lS6_li.kd
    .uniform_work_group_size: 1
    .uses_dynamic_stack: false
    .vgpr_count:     7
    .vgpr_spill_count: 0
    .wavefront_size: 32
    .workgroup_processor_mode: 1
  - .args:
      - .offset:         0
        .size:           4
        .value_kind:     by_value
      - .address_space:  global
        .offset:         8
        .size:           8
        .value_kind:     global_buffer
      - .offset:         16
        .size:           8
        .value_kind:     by_value
      - .offset:         24
        .size:           8
        .value_kind:     by_value
      - .offset:         32
        .size:           8
        .value_kind:     by_value
      - .address_space:  global
        .offset:         40
        .size:           8
        .value_kind:     global_buffer
      - .offset:         48
        .size:           8
        .value_kind:     by_value
      - .offset:         56
        .size:           8
        .value_kind:     by_value
      - .offset:         64
        .size:           8
        .value_kind:     by_value
      - .offset:         72
        .size:           4
        .value_kind:     by_value
    .group_segment_fixed_size: 0
    .kernarg_segment_align: 8
    .kernarg_segment_size: 76
    .language:       OpenCL C
    .language_version:
      - 2
      - 0
    .max_flat_workgroup_size: 256
    .name:           _ZL19rocblas_copy_kernelIlLi256EPK19rocblas_complex_numIfEPS1_EviT1_lT_lT2_lS6_li
    .private_segment_fixed_size: 0
    .sgpr_count:     34
    .sgpr_spill_count: 0
    .symbol:         _ZL19rocblas_copy_kernelIlLi256EPK19rocblas_complex_numIfEPS1_EviT1_lT_lT2_lS6_li.kd
    .uniform_work_group_size: 1
    .uses_dynamic_stack: false
    .vgpr_count:     7
    .vgpr_spill_count: 0
    .wavefront_size: 32
    .workgroup_processor_mode: 1
  - .args:
      - .offset:         0
        .size:           4
        .value_kind:     by_value
      - .address_space:  global
        .offset:         8
        .size:           8
        .value_kind:     global_buffer
      - .offset:         16
        .size:           8
        .value_kind:     by_value
      - .offset:         24
        .size:           4
        .value_kind:     by_value
      - .offset:         32
        .size:           8
        .value_kind:     by_value
      - .address_space:  global
        .offset:         40
        .size:           8
        .value_kind:     global_buffer
      - .offset:         48
        .size:           8
        .value_kind:     by_value
      - .offset:         56
        .size:           4
        .value_kind:     by_value
      - .offset:         64
        .size:           8
        .value_kind:     by_value
      - .offset:         72
        .size:           4
        .value_kind:     by_value
    .group_segment_fixed_size: 0
    .kernarg_segment_align: 8
    .kernarg_segment_size: 76
    .language:       OpenCL C
    .language_version:
      - 2
      - 0
    .max_flat_workgroup_size: 256
    .name:           _ZL19rocblas_copy_kernelIiLi256EPK19rocblas_complex_numIdEPS1_EviT1_lT_lT2_lS6_li
    .private_segment_fixed_size: 0
    .sgpr_count:     19
    .sgpr_spill_count: 0
    .symbol:         _ZL19rocblas_copy_kernelIiLi256EPK19rocblas_complex_numIdEPS1_EviT1_lT_lT2_lS6_li.kd
    .uniform_work_group_size: 1
    .uses_dynamic_stack: false
    .vgpr_count:     9
    .vgpr_spill_count: 0
    .wavefront_size: 32
    .workgroup_processor_mode: 1
  - .args:
      - .offset:         0
        .size:           4
        .value_kind:     by_value
      - .address_space:  global
        .offset:         8
        .size:           8
        .value_kind:     global_buffer
      - .offset:         16
        .size:           8
        .value_kind:     by_value
      - .offset:         24
        .size:           8
        .value_kind:     by_value
      - .offset:         32
        .size:           8
        .value_kind:     by_value
      - .address_space:  global
        .offset:         40
        .size:           8
        .value_kind:     global_buffer
      - .offset:         48
        .size:           8
        .value_kind:     by_value
      - .offset:         56
        .size:           8
        .value_kind:     by_value
      - .offset:         64
        .size:           8
        .value_kind:     by_value
      - .offset:         72
        .size:           4
        .value_kind:     by_value
    .group_segment_fixed_size: 0
    .kernarg_segment_align: 8
    .kernarg_segment_size: 76
    .language:       OpenCL C
    .language_version:
      - 2
      - 0
    .max_flat_workgroup_size: 256
    .name:           _ZL19rocblas_copy_kernelIlLi256EPK19rocblas_complex_numIdEPS1_EviT1_lT_lT2_lS6_li
    .private_segment_fixed_size: 0
    .sgpr_count:     34
    .sgpr_spill_count: 0
    .symbol:         _ZL19rocblas_copy_kernelIlLi256EPK19rocblas_complex_numIdEPS1_EviT1_lT_lT2_lS6_li.kd
    .uniform_work_group_size: 1
    .uses_dynamic_stack: false
    .vgpr_count:     9
    .vgpr_spill_count: 0
    .wavefront_size: 32
    .workgroup_processor_mode: 1
  - .args:
      - .offset:         0
        .size:           4
        .value_kind:     by_value
      - .address_space:  global
        .offset:         8
        .size:           8
        .value_kind:     global_buffer
      - .offset:         16
        .size:           8
        .value_kind:     by_value
      - .offset:         24
        .size:           4
        .value_kind:     by_value
      - .offset:         32
        .size:           8
        .value_kind:     by_value
      - .address_space:  global
        .offset:         40
        .size:           8
        .value_kind:     global_buffer
      - .offset:         48
        .size:           8
        .value_kind:     by_value
      - .offset:         56
        .size:           4
        .value_kind:     by_value
      - .offset:         64
        .size:           8
        .value_kind:     by_value
      - .offset:         72
        .size:           4
        .value_kind:     by_value
    .group_segment_fixed_size: 0
    .kernarg_segment_align: 8
    .kernarg_segment_size: 76
    .language:       OpenCL C
    .language_version:
      - 2
      - 0
    .max_flat_workgroup_size: 256
    .name:           _ZL19rocblas_copy_kernelIiLi256EPKPKfPKPfEviT1_lT_lT2_lS8_li
    .private_segment_fixed_size: 0
    .sgpr_count:     18
    .sgpr_spill_count: 0
    .symbol:         _ZL19rocblas_copy_kernelIiLi256EPKPKfPKPfEviT1_lT_lT2_lS8_li.kd
    .uniform_work_group_size: 1
    .uses_dynamic_stack: false
    .vgpr_count:     6
    .vgpr_spill_count: 0
    .wavefront_size: 32
    .workgroup_processor_mode: 1
  - .args:
      - .offset:         0
        .size:           4
        .value_kind:     by_value
      - .actual_access:  read_only
        .address_space:  global
        .offset:         8
        .size:           8
        .value_kind:     global_buffer
      - .offset:         16
        .size:           8
        .value_kind:     by_value
      - .offset:         24
        .size:           8
        .value_kind:     by_value
      - .actual_access:  read_only
        .address_space:  global
        .offset:         32
        .size:           8
        .value_kind:     global_buffer
      - .offset:         40
        .size:           8
        .value_kind:     by_value
      - .offset:         48
        .size:           8
        .value_kind:     by_value
      - .offset:         56
        .size:           4
        .value_kind:     by_value
    .group_segment_fixed_size: 0
    .kernarg_segment_align: 8
    .kernarg_segment_size: 60
    .language:       OpenCL C
    .language_version:
      - 2
      - 0
    .max_flat_workgroup_size: 256
    .name:           _ZL22rocblas_scopy_2_kernelILi256EPKPKfPKPfEviT0_llT1_lli
    .private_segment_fixed_size: 0
    .sgpr_count:     18
    .sgpr_spill_count: 0
    .symbol:         _ZL22rocblas_scopy_2_kernelILi256EPKPKfPKPfEviT0_llT1_lli.kd
    .uniform_work_group_size: 1
    .uses_dynamic_stack: false
    .vgpr_count:     9
    .vgpr_spill_count: 0
    .wavefront_size: 32
    .workgroup_processor_mode: 1
  - .args:
      - .offset:         0
        .size:           4
        .value_kind:     by_value
      - .address_space:  global
        .offset:         8
        .size:           8
        .value_kind:     global_buffer
      - .offset:         16
        .size:           8
        .value_kind:     by_value
      - .offset:         24
        .size:           8
        .value_kind:     by_value
      - .offset:         32
        .size:           8
        .value_kind:     by_value
      - .address_space:  global
        .offset:         40
        .size:           8
        .value_kind:     global_buffer
      - .offset:         48
        .size:           8
        .value_kind:     by_value
      - .offset:         56
        .size:           8
        .value_kind:     by_value
      - .offset:         64
        .size:           8
        .value_kind:     by_value
      - .offset:         72
        .size:           4
        .value_kind:     by_value
    .group_segment_fixed_size: 0
    .kernarg_segment_align: 8
    .kernarg_segment_size: 76
    .language:       OpenCL C
    .language_version:
      - 2
      - 0
    .max_flat_workgroup_size: 256
    .name:           _ZL19rocblas_copy_kernelIlLi256EPKPKfPKPfEviT1_lT_lT2_lS8_li
    .private_segment_fixed_size: 0
    .sgpr_count:     18
    .sgpr_spill_count: 0
    .symbol:         _ZL19rocblas_copy_kernelIlLi256EPKPKfPKPfEviT1_lT_lT2_lS8_li.kd
    .uniform_work_group_size: 1
    .uses_dynamic_stack: false
    .vgpr_count:     6
    .vgpr_spill_count: 0
    .wavefront_size: 32
    .workgroup_processor_mode: 1
  - .args:
      - .offset:         0
        .size:           4
        .value_kind:     by_value
      - .address_space:  global
        .offset:         8
        .size:           8
        .value_kind:     global_buffer
      - .offset:         16
        .size:           8
        .value_kind:     by_value
      - .offset:         24
        .size:           4
        .value_kind:     by_value
      - .offset:         32
        .size:           8
        .value_kind:     by_value
      - .address_space:  global
        .offset:         40
        .size:           8
        .value_kind:     global_buffer
      - .offset:         48
        .size:           8
        .value_kind:     by_value
      - .offset:         56
        .size:           4
        .value_kind:     by_value
      - .offset:         64
        .size:           8
        .value_kind:     by_value
      - .offset:         72
        .size:           4
        .value_kind:     by_value
    .group_segment_fixed_size: 0
    .kernarg_segment_align: 8
    .kernarg_segment_size: 76
    .language:       OpenCL C
    .language_version:
      - 2
      - 0
    .max_flat_workgroup_size: 256
    .name:           _ZL19rocblas_copy_kernelIiLi256EPKPKdPKPdEviT1_lT_lT2_lS8_li
    .private_segment_fixed_size: 0
    .sgpr_count:     18
    .sgpr_spill_count: 0
    .symbol:         _ZL19rocblas_copy_kernelIiLi256EPKPKdPKPdEviT1_lT_lT2_lS8_li.kd
    .uniform_work_group_size: 1
    .uses_dynamic_stack: false
    .vgpr_count:     7
    .vgpr_spill_count: 0
    .wavefront_size: 32
    .workgroup_processor_mode: 1
  - .args:
      - .offset:         0
        .size:           4
        .value_kind:     by_value
      - .address_space:  global
        .offset:         8
        .size:           8
        .value_kind:     global_buffer
      - .offset:         16
        .size:           8
        .value_kind:     by_value
      - .offset:         24
        .size:           8
        .value_kind:     by_value
      - .offset:         32
        .size:           8
        .value_kind:     by_value
      - .address_space:  global
        .offset:         40
        .size:           8
        .value_kind:     global_buffer
      - .offset:         48
        .size:           8
        .value_kind:     by_value
      - .offset:         56
        .size:           8
        .value_kind:     by_value
      - .offset:         64
        .size:           8
        .value_kind:     by_value
      - .offset:         72
        .size:           4
        .value_kind:     by_value
    .group_segment_fixed_size: 0
    .kernarg_segment_align: 8
    .kernarg_segment_size: 76
    .language:       OpenCL C
    .language_version:
      - 2
      - 0
    .max_flat_workgroup_size: 256
    .name:           _ZL19rocblas_copy_kernelIlLi256EPKPKdPKPdEviT1_lT_lT2_lS8_li
    .private_segment_fixed_size: 0
    .sgpr_count:     18
    .sgpr_spill_count: 0
    .symbol:         _ZL19rocblas_copy_kernelIlLi256EPKPKdPKPdEviT1_lT_lT2_lS8_li.kd
    .uniform_work_group_size: 1
    .uses_dynamic_stack: false
    .vgpr_count:     7
    .vgpr_spill_count: 0
    .wavefront_size: 32
    .workgroup_processor_mode: 1
  - .args:
      - .offset:         0
        .size:           4
        .value_kind:     by_value
      - .address_space:  global
        .offset:         8
        .size:           8
        .value_kind:     global_buffer
      - .offset:         16
        .size:           8
        .value_kind:     by_value
      - .offset:         24
        .size:           4
        .value_kind:     by_value
      - .offset:         32
        .size:           8
        .value_kind:     by_value
      - .address_space:  global
        .offset:         40
        .size:           8
        .value_kind:     global_buffer
      - .offset:         48
        .size:           8
        .value_kind:     by_value
      - .offset:         56
        .size:           4
        .value_kind:     by_value
      - .offset:         64
        .size:           8
        .value_kind:     by_value
      - .offset:         72
        .size:           4
        .value_kind:     by_value
    .group_segment_fixed_size: 0
    .kernarg_segment_align: 8
    .kernarg_segment_size: 76
    .language:       OpenCL C
    .language_version:
      - 2
      - 0
    .max_flat_workgroup_size: 256
    .name:           _ZL19rocblas_copy_kernelIiLi256EPKPKDF16_PKPDF16_EviT1_lT_lT2_lS8_li
    .private_segment_fixed_size: 0
    .sgpr_count:     18
    .sgpr_spill_count: 0
    .symbol:         _ZL19rocblas_copy_kernelIiLi256EPKPKDF16_PKPDF16_EviT1_lT_lT2_lS8_li.kd
    .uniform_work_group_size: 1
    .uses_dynamic_stack: false
    .vgpr_count:     6
    .vgpr_spill_count: 0
    .wavefront_size: 32
    .workgroup_processor_mode: 1
  - .args:
      - .offset:         0
        .size:           4
        .value_kind:     by_value
      - .address_space:  global
        .offset:         8
        .size:           8
        .value_kind:     global_buffer
      - .offset:         16
        .size:           8
        .value_kind:     by_value
      - .offset:         24
        .size:           8
        .value_kind:     by_value
      - .offset:         32
        .size:           8
        .value_kind:     by_value
      - .address_space:  global
        .offset:         40
        .size:           8
        .value_kind:     global_buffer
      - .offset:         48
        .size:           8
        .value_kind:     by_value
      - .offset:         56
        .size:           8
        .value_kind:     by_value
      - .offset:         64
        .size:           8
        .value_kind:     by_value
      - .offset:         72
        .size:           4
        .value_kind:     by_value
    .group_segment_fixed_size: 0
    .kernarg_segment_align: 8
    .kernarg_segment_size: 76
    .language:       OpenCL C
    .language_version:
      - 2
      - 0
    .max_flat_workgroup_size: 256
    .name:           _ZL19rocblas_copy_kernelIlLi256EPKPKDF16_PKPDF16_EviT1_lT_lT2_lS8_li
    .private_segment_fixed_size: 0
    .sgpr_count:     18
    .sgpr_spill_count: 0
    .symbol:         _ZL19rocblas_copy_kernelIlLi256EPKPKDF16_PKPDF16_EviT1_lT_lT2_lS8_li.kd
    .uniform_work_group_size: 1
    .uses_dynamic_stack: false
    .vgpr_count:     6
    .vgpr_spill_count: 0
    .wavefront_size: 32
    .workgroup_processor_mode: 1
  - .args:
      - .offset:         0
        .size:           4
        .value_kind:     by_value
      - .address_space:  global
        .offset:         8
        .size:           8
        .value_kind:     global_buffer
      - .offset:         16
        .size:           8
        .value_kind:     by_value
      - .offset:         24
        .size:           4
        .value_kind:     by_value
      - .offset:         32
        .size:           8
        .value_kind:     by_value
      - .address_space:  global
        .offset:         40
        .size:           8
        .value_kind:     global_buffer
      - .offset:         48
        .size:           8
        .value_kind:     by_value
      - .offset:         56
        .size:           4
        .value_kind:     by_value
      - .offset:         64
        .size:           8
        .value_kind:     by_value
      - .offset:         72
        .size:           4
        .value_kind:     by_value
    .group_segment_fixed_size: 0
    .kernarg_segment_align: 8
    .kernarg_segment_size: 76
    .language:       OpenCL C
    .language_version:
      - 2
      - 0
    .max_flat_workgroup_size: 256
    .name:           _ZL19rocblas_copy_kernelIiLi256EPKPK19rocblas_complex_numIfEPKPS1_EviT1_lT_lT2_lSA_li
    .private_segment_fixed_size: 0
    .sgpr_count:     18
    .sgpr_spill_count: 0
    .symbol:         _ZL19rocblas_copy_kernelIiLi256EPKPK19rocblas_complex_numIfEPKPS1_EviT1_lT_lT2_lSA_li.kd
    .uniform_work_group_size: 1
    .uses_dynamic_stack: false
    .vgpr_count:     7
    .vgpr_spill_count: 0
    .wavefront_size: 32
    .workgroup_processor_mode: 1
  - .args:
      - .offset:         0
        .size:           4
        .value_kind:     by_value
      - .address_space:  global
        .offset:         8
        .size:           8
        .value_kind:     global_buffer
      - .offset:         16
        .size:           8
        .value_kind:     by_value
      - .offset:         24
        .size:           8
        .value_kind:     by_value
      - .offset:         32
        .size:           8
        .value_kind:     by_value
      - .address_space:  global
        .offset:         40
        .size:           8
        .value_kind:     global_buffer
      - .offset:         48
        .size:           8
        .value_kind:     by_value
      - .offset:         56
        .size:           8
        .value_kind:     by_value
      - .offset:         64
        .size:           8
        .value_kind:     by_value
      - .offset:         72
        .size:           4
        .value_kind:     by_value
    .group_segment_fixed_size: 0
    .kernarg_segment_align: 8
    .kernarg_segment_size: 76
    .language:       OpenCL C
    .language_version:
      - 2
      - 0
    .max_flat_workgroup_size: 256
    .name:           _ZL19rocblas_copy_kernelIlLi256EPKPK19rocblas_complex_numIfEPKPS1_EviT1_lT_lT2_lSA_li
    .private_segment_fixed_size: 0
    .sgpr_count:     18
    .sgpr_spill_count: 0
    .symbol:         _ZL19rocblas_copy_kernelIlLi256EPKPK19rocblas_complex_numIfEPKPS1_EviT1_lT_lT2_lSA_li.kd
    .uniform_work_group_size: 1
    .uses_dynamic_stack: false
    .vgpr_count:     7
    .vgpr_spill_count: 0
    .wavefront_size: 32
    .workgroup_processor_mode: 1
  - .args:
      - .offset:         0
        .size:           4
        .value_kind:     by_value
      - .address_space:  global
        .offset:         8
        .size:           8
        .value_kind:     global_buffer
      - .offset:         16
        .size:           8
        .value_kind:     by_value
      - .offset:         24
        .size:           4
        .value_kind:     by_value
      - .offset:         32
        .size:           8
        .value_kind:     by_value
      - .address_space:  global
        .offset:         40
        .size:           8
        .value_kind:     global_buffer
      - .offset:         48
        .size:           8
        .value_kind:     by_value
      - .offset:         56
        .size:           4
        .value_kind:     by_value
      - .offset:         64
        .size:           8
        .value_kind:     by_value
      - .offset:         72
        .size:           4
        .value_kind:     by_value
    .group_segment_fixed_size: 0
    .kernarg_segment_align: 8
    .kernarg_segment_size: 76
    .language:       OpenCL C
    .language_version:
      - 2
      - 0
    .max_flat_workgroup_size: 256
    .name:           _ZL19rocblas_copy_kernelIiLi256EPKPK19rocblas_complex_numIdEPKPS1_EviT1_lT_lT2_lSA_li
    .private_segment_fixed_size: 0
    .sgpr_count:     18
    .sgpr_spill_count: 0
    .symbol:         _ZL19rocblas_copy_kernelIiLi256EPKPK19rocblas_complex_numIdEPKPS1_EviT1_lT_lT2_lSA_li.kd
    .uniform_work_group_size: 1
    .uses_dynamic_stack: false
    .vgpr_count:     9
    .vgpr_spill_count: 0
    .wavefront_size: 32
    .workgroup_processor_mode: 1
  - .args:
      - .offset:         0
        .size:           4
        .value_kind:     by_value
      - .address_space:  global
        .offset:         8
        .size:           8
        .value_kind:     global_buffer
      - .offset:         16
        .size:           8
        .value_kind:     by_value
      - .offset:         24
        .size:           8
        .value_kind:     by_value
      - .offset:         32
        .size:           8
        .value_kind:     by_value
      - .address_space:  global
        .offset:         40
        .size:           8
        .value_kind:     global_buffer
      - .offset:         48
        .size:           8
        .value_kind:     by_value
      - .offset:         56
        .size:           8
        .value_kind:     by_value
      - .offset:         64
        .size:           8
        .value_kind:     by_value
      - .offset:         72
        .size:           4
        .value_kind:     by_value
    .group_segment_fixed_size: 0
    .kernarg_segment_align: 8
    .kernarg_segment_size: 76
    .language:       OpenCL C
    .language_version:
      - 2
      - 0
    .max_flat_workgroup_size: 256
    .name:           _ZL19rocblas_copy_kernelIlLi256EPKPK19rocblas_complex_numIdEPKPS1_EviT1_lT_lT2_lSA_li
    .private_segment_fixed_size: 0
    .sgpr_count:     18
    .sgpr_spill_count: 0
    .symbol:         _ZL19rocblas_copy_kernelIlLi256EPKPK19rocblas_complex_numIdEPKPS1_EviT1_lT_lT2_lSA_li.kd
    .uniform_work_group_size: 1
    .uses_dynamic_stack: false
    .vgpr_count:     9
    .vgpr_spill_count: 0
    .wavefront_size: 32
    .workgroup_processor_mode: 1
amdhsa.target:   amdgcn-amd-amdhsa--gfx1100
amdhsa.version:
  - 1
  - 2
...

	.end_amdgpu_metadata
